;; amdgpu-corpus repo=ROCm/rocFFT kind=compiled arch=gfx1201 opt=O3
	.text
	.amdgcn_target "amdgcn-amd-amdhsa--gfx1201"
	.amdhsa_code_object_version 6
	.protected	fft_rtc_fwd_len1445_factors_17_5_17_wgs_85_tpt_85_halfLds_dp_op_CI_CI_unitstride_sbrr_dirReg ; -- Begin function fft_rtc_fwd_len1445_factors_17_5_17_wgs_85_tpt_85_halfLds_dp_op_CI_CI_unitstride_sbrr_dirReg
	.globl	fft_rtc_fwd_len1445_factors_17_5_17_wgs_85_tpt_85_halfLds_dp_op_CI_CI_unitstride_sbrr_dirReg
	.p2align	8
	.type	fft_rtc_fwd_len1445_factors_17_5_17_wgs_85_tpt_85_halfLds_dp_op_CI_CI_unitstride_sbrr_dirReg,@function
fft_rtc_fwd_len1445_factors_17_5_17_wgs_85_tpt_85_halfLds_dp_op_CI_CI_unitstride_sbrr_dirReg: ; @fft_rtc_fwd_len1445_factors_17_5_17_wgs_85_tpt_85_halfLds_dp_op_CI_CI_unitstride_sbrr_dirReg
; %bb.0:
	s_clause 0x2
	s_load_b128 s[8:11], s[0:1], 0x0
	s_load_b128 s[4:7], s[0:1], 0x58
	;; [unrolled: 1-line block ×3, first 2 shown]
	v_mul_u32_u24_e32 v1, 0x304, v0
	v_mov_b32_e32 v4, 0
	v_mov_b32_e32 v5, 0
	s_delay_alu instid0(VALU_DEP_3) | instskip(NEXT) | instid1(VALU_DEP_1)
	v_lshrrev_b32_e32 v2, 16, v1
	v_dual_mov_b32 v1, 0 :: v_dual_add_nc_u32 v6, ttmp9, v2
	s_delay_alu instid0(VALU_DEP_1) | instskip(SKIP_2) | instid1(VALU_DEP_1)
	v_mov_b32_e32 v7, v1
	s_wait_kmcnt 0x0
	v_cmp_lt_u64_e64 s2, s[10:11], 2
	s_and_b32 vcc_lo, exec_lo, s2
	s_cbranch_vccnz .LBB0_8
; %bb.1:
	s_load_b64 s[2:3], s[0:1], 0x10
	v_mov_b32_e32 v4, 0
	v_mov_b32_e32 v5, 0
	s_add_nc_u64 s[16:17], s[14:15], 8
	s_add_nc_u64 s[18:19], s[12:13], 8
	s_mov_b64 s[20:21], 1
	s_delay_alu instid0(VALU_DEP_1)
	v_dual_mov_b32 v97, v5 :: v_dual_mov_b32 v96, v4
	s_wait_kmcnt 0x0
	s_add_nc_u64 s[22:23], s[2:3], 8
	s_mov_b32 s3, 0
.LBB0_2:                                ; =>This Inner Loop Header: Depth=1
	s_load_b64 s[24:25], s[22:23], 0x0
                                        ; implicit-def: $vgpr98_vgpr99
	s_mov_b32 s2, exec_lo
	s_wait_kmcnt 0x0
	v_or_b32_e32 v2, s25, v7
	s_delay_alu instid0(VALU_DEP_1)
	v_cmpx_ne_u64_e32 0, v[1:2]
	s_wait_alu 0xfffe
	s_xor_b32 s26, exec_lo, s2
	s_cbranch_execz .LBB0_4
; %bb.3:                                ;   in Loop: Header=BB0_2 Depth=1
	s_cvt_f32_u32 s2, s24
	s_cvt_f32_u32 s27, s25
	s_sub_nc_u64 s[30:31], 0, s[24:25]
	s_wait_alu 0xfffe
	s_delay_alu instid0(SALU_CYCLE_1) | instskip(SKIP_1) | instid1(SALU_CYCLE_2)
	s_fmamk_f32 s2, s27, 0x4f800000, s2
	s_wait_alu 0xfffe
	v_s_rcp_f32 s2, s2
	s_delay_alu instid0(TRANS32_DEP_1) | instskip(SKIP_1) | instid1(SALU_CYCLE_2)
	s_mul_f32 s2, s2, 0x5f7ffffc
	s_wait_alu 0xfffe
	s_mul_f32 s27, s2, 0x2f800000
	s_wait_alu 0xfffe
	s_delay_alu instid0(SALU_CYCLE_2) | instskip(SKIP_1) | instid1(SALU_CYCLE_2)
	s_trunc_f32 s27, s27
	s_wait_alu 0xfffe
	s_fmamk_f32 s2, s27, 0xcf800000, s2
	s_cvt_u32_f32 s29, s27
	s_wait_alu 0xfffe
	s_delay_alu instid0(SALU_CYCLE_1) | instskip(SKIP_1) | instid1(SALU_CYCLE_2)
	s_cvt_u32_f32 s28, s2
	s_wait_alu 0xfffe
	s_mul_u64 s[34:35], s[30:31], s[28:29]
	s_wait_alu 0xfffe
	s_mul_hi_u32 s37, s28, s35
	s_mul_i32 s36, s28, s35
	s_mul_hi_u32 s2, s28, s34
	s_mul_i32 s33, s29, s34
	s_wait_alu 0xfffe
	s_add_nc_u64 s[36:37], s[2:3], s[36:37]
	s_mul_hi_u32 s27, s29, s34
	s_mul_hi_u32 s38, s29, s35
	s_add_co_u32 s2, s36, s33
	s_wait_alu 0xfffe
	s_add_co_ci_u32 s2, s37, s27
	s_mul_i32 s34, s29, s35
	s_add_co_ci_u32 s35, s38, 0
	s_wait_alu 0xfffe
	s_add_nc_u64 s[34:35], s[2:3], s[34:35]
	s_wait_alu 0xfffe
	v_add_co_u32 v2, s2, s28, s34
	s_delay_alu instid0(VALU_DEP_1) | instskip(SKIP_1) | instid1(VALU_DEP_1)
	s_cmp_lg_u32 s2, 0
	s_add_co_ci_u32 s29, s29, s35
	v_readfirstlane_b32 s28, v2
	s_wait_alu 0xfffe
	s_delay_alu instid0(VALU_DEP_1)
	s_mul_u64 s[30:31], s[30:31], s[28:29]
	s_wait_alu 0xfffe
	s_mul_hi_u32 s35, s28, s31
	s_mul_i32 s34, s28, s31
	s_mul_hi_u32 s2, s28, s30
	s_mul_i32 s33, s29, s30
	s_wait_alu 0xfffe
	s_add_nc_u64 s[34:35], s[2:3], s[34:35]
	s_mul_hi_u32 s27, s29, s30
	s_mul_hi_u32 s28, s29, s31
	s_wait_alu 0xfffe
	s_add_co_u32 s2, s34, s33
	s_add_co_ci_u32 s2, s35, s27
	s_mul_i32 s30, s29, s31
	s_add_co_ci_u32 s31, s28, 0
	s_wait_alu 0xfffe
	s_add_nc_u64 s[30:31], s[2:3], s[30:31]
	s_wait_alu 0xfffe
	v_add_co_u32 v8, s2, v2, s30
	s_delay_alu instid0(VALU_DEP_1) | instskip(SKIP_1) | instid1(VALU_DEP_1)
	s_cmp_lg_u32 s2, 0
	s_add_co_ci_u32 s2, s29, s31
	v_mul_hi_u32 v12, v6, v8
	s_wait_alu 0xfffe
	v_mad_co_u64_u32 v[2:3], null, v6, s2, 0
	v_mad_co_u64_u32 v[8:9], null, v7, v8, 0
	;; [unrolled: 1-line block ×3, first 2 shown]
	s_delay_alu instid0(VALU_DEP_3) | instskip(SKIP_1) | instid1(VALU_DEP_4)
	v_add_co_u32 v2, vcc_lo, v12, v2
	s_wait_alu 0xfffd
	v_add_co_ci_u32_e32 v3, vcc_lo, 0, v3, vcc_lo
	s_delay_alu instid0(VALU_DEP_2) | instskip(SKIP_1) | instid1(VALU_DEP_2)
	v_add_co_u32 v2, vcc_lo, v2, v8
	s_wait_alu 0xfffd
	v_add_co_ci_u32_e32 v2, vcc_lo, v3, v9, vcc_lo
	s_wait_alu 0xfffd
	v_add_co_ci_u32_e32 v3, vcc_lo, 0, v11, vcc_lo
	s_delay_alu instid0(VALU_DEP_2) | instskip(SKIP_1) | instid1(VALU_DEP_2)
	v_add_co_u32 v8, vcc_lo, v2, v10
	s_wait_alu 0xfffd
	v_add_co_ci_u32_e32 v9, vcc_lo, 0, v3, vcc_lo
	s_delay_alu instid0(VALU_DEP_2) | instskip(SKIP_1) | instid1(VALU_DEP_3)
	v_mul_lo_u32 v10, s25, v8
	v_mad_co_u64_u32 v[2:3], null, s24, v8, 0
	v_mul_lo_u32 v11, s24, v9
	s_delay_alu instid0(VALU_DEP_2) | instskip(NEXT) | instid1(VALU_DEP_2)
	v_sub_co_u32 v2, vcc_lo, v6, v2
	v_add3_u32 v3, v3, v11, v10
	s_delay_alu instid0(VALU_DEP_1) | instskip(SKIP_1) | instid1(VALU_DEP_1)
	v_sub_nc_u32_e32 v10, v7, v3
	s_wait_alu 0xfffd
	v_subrev_co_ci_u32_e64 v10, s2, s25, v10, vcc_lo
	v_add_co_u32 v11, s2, v8, 2
	s_wait_alu 0xf1ff
	v_add_co_ci_u32_e64 v12, s2, 0, v9, s2
	v_sub_co_u32 v13, s2, v2, s24
	v_sub_co_ci_u32_e32 v3, vcc_lo, v7, v3, vcc_lo
	s_wait_alu 0xf1ff
	v_subrev_co_ci_u32_e64 v10, s2, 0, v10, s2
	s_delay_alu instid0(VALU_DEP_3) | instskip(NEXT) | instid1(VALU_DEP_3)
	v_cmp_le_u32_e32 vcc_lo, s24, v13
	v_cmp_eq_u32_e64 s2, s25, v3
	s_wait_alu 0xfffd
	v_cndmask_b32_e64 v13, 0, -1, vcc_lo
	v_cmp_le_u32_e32 vcc_lo, s25, v10
	s_wait_alu 0xfffd
	v_cndmask_b32_e64 v14, 0, -1, vcc_lo
	v_cmp_le_u32_e32 vcc_lo, s24, v2
	;; [unrolled: 3-line block ×3, first 2 shown]
	s_wait_alu 0xfffd
	v_cndmask_b32_e64 v15, 0, -1, vcc_lo
	v_cmp_eq_u32_e32 vcc_lo, s25, v10
	s_wait_alu 0xf1ff
	s_delay_alu instid0(VALU_DEP_2)
	v_cndmask_b32_e64 v2, v15, v2, s2
	s_wait_alu 0xfffd
	v_cndmask_b32_e32 v10, v14, v13, vcc_lo
	v_add_co_u32 v13, vcc_lo, v8, 1
	s_wait_alu 0xfffd
	v_add_co_ci_u32_e32 v14, vcc_lo, 0, v9, vcc_lo
	s_delay_alu instid0(VALU_DEP_3) | instskip(SKIP_1) | instid1(VALU_DEP_2)
	v_cmp_ne_u32_e32 vcc_lo, 0, v10
	s_wait_alu 0xfffd
	v_dual_cndmask_b32 v3, v14, v12 :: v_dual_cndmask_b32 v10, v13, v11
	v_cmp_ne_u32_e32 vcc_lo, 0, v2
	s_wait_alu 0xfffd
	s_delay_alu instid0(VALU_DEP_2)
	v_dual_cndmask_b32 v99, v9, v3 :: v_dual_cndmask_b32 v98, v8, v10
.LBB0_4:                                ;   in Loop: Header=BB0_2 Depth=1
	s_wait_alu 0xfffe
	s_and_not1_saveexec_b32 s2, s26
	s_cbranch_execz .LBB0_6
; %bb.5:                                ;   in Loop: Header=BB0_2 Depth=1
	v_cvt_f32_u32_e32 v2, s24
	s_sub_co_i32 s26, 0, s24
	v_mov_b32_e32 v99, v1
	s_delay_alu instid0(VALU_DEP_2) | instskip(NEXT) | instid1(TRANS32_DEP_1)
	v_rcp_iflag_f32_e32 v2, v2
	v_mul_f32_e32 v2, 0x4f7ffffe, v2
	s_delay_alu instid0(VALU_DEP_1) | instskip(SKIP_1) | instid1(VALU_DEP_1)
	v_cvt_u32_f32_e32 v2, v2
	s_wait_alu 0xfffe
	v_mul_lo_u32 v3, s26, v2
	s_delay_alu instid0(VALU_DEP_1) | instskip(NEXT) | instid1(VALU_DEP_1)
	v_mul_hi_u32 v3, v2, v3
	v_add_nc_u32_e32 v2, v2, v3
	s_delay_alu instid0(VALU_DEP_1) | instskip(NEXT) | instid1(VALU_DEP_1)
	v_mul_hi_u32 v2, v6, v2
	v_mul_lo_u32 v3, v2, s24
	v_add_nc_u32_e32 v8, 1, v2
	s_delay_alu instid0(VALU_DEP_2) | instskip(NEXT) | instid1(VALU_DEP_1)
	v_sub_nc_u32_e32 v3, v6, v3
	v_subrev_nc_u32_e32 v9, s24, v3
	v_cmp_le_u32_e32 vcc_lo, s24, v3
	s_wait_alu 0xfffd
	s_delay_alu instid0(VALU_DEP_2) | instskip(NEXT) | instid1(VALU_DEP_1)
	v_dual_cndmask_b32 v3, v3, v9 :: v_dual_cndmask_b32 v2, v2, v8
	v_cmp_le_u32_e32 vcc_lo, s24, v3
	s_delay_alu instid0(VALU_DEP_2) | instskip(SKIP_1) | instid1(VALU_DEP_1)
	v_add_nc_u32_e32 v8, 1, v2
	s_wait_alu 0xfffd
	v_cndmask_b32_e32 v98, v2, v8, vcc_lo
.LBB0_6:                                ;   in Loop: Header=BB0_2 Depth=1
	s_wait_alu 0xfffe
	s_or_b32 exec_lo, exec_lo, s2
	v_mul_lo_u32 v8, v99, s24
	s_delay_alu instid0(VALU_DEP_2)
	v_mul_lo_u32 v9, v98, s25
	s_load_b64 s[26:27], s[18:19], 0x0
	v_mad_co_u64_u32 v[2:3], null, v98, s24, 0
	s_load_b64 s[24:25], s[16:17], 0x0
	s_add_nc_u64 s[20:21], s[20:21], 1
	s_add_nc_u64 s[16:17], s[16:17], 8
	s_wait_alu 0xfffe
	v_cmp_ge_u64_e64 s2, s[20:21], s[10:11]
	s_add_nc_u64 s[18:19], s[18:19], 8
	s_add_nc_u64 s[22:23], s[22:23], 8
	v_add3_u32 v3, v3, v9, v8
	v_sub_co_u32 v2, vcc_lo, v6, v2
	s_wait_alu 0xfffd
	s_delay_alu instid0(VALU_DEP_2) | instskip(SKIP_2) | instid1(VALU_DEP_1)
	v_sub_co_ci_u32_e32 v3, vcc_lo, v7, v3, vcc_lo
	s_and_b32 vcc_lo, exec_lo, s2
	s_wait_kmcnt 0x0
	v_mul_lo_u32 v6, s26, v3
	v_mul_lo_u32 v7, s27, v2
	v_mad_co_u64_u32 v[4:5], null, s26, v2, v[4:5]
	v_mul_lo_u32 v3, s24, v3
	v_mul_lo_u32 v8, s25, v2
	v_mad_co_u64_u32 v[96:97], null, s24, v2, v[96:97]
	s_delay_alu instid0(VALU_DEP_4) | instskip(NEXT) | instid1(VALU_DEP_2)
	v_add3_u32 v5, v7, v5, v6
	v_add3_u32 v97, v8, v97, v3
	s_wait_alu 0xfffe
	s_cbranch_vccnz .LBB0_9
; %bb.7:                                ;   in Loop: Header=BB0_2 Depth=1
	v_dual_mov_b32 v6, v98 :: v_dual_mov_b32 v7, v99
	s_branch .LBB0_2
.LBB0_8:
	v_dual_mov_b32 v97, v5 :: v_dual_mov_b32 v96, v4
	v_dual_mov_b32 v99, v7 :: v_dual_mov_b32 v98, v6
.LBB0_9:
	s_load_b64 s[0:1], s[0:1], 0x28
	v_mul_hi_u32 v1, 0x3030304, v0
	s_lshl_b64 s[10:11], s[10:11], 3
                                        ; implicit-def: $sgpr2_sgpr3
                                        ; implicit-def: $vgpr102
	s_wait_kmcnt 0x0
	v_cmp_gt_u64_e32 vcc_lo, s[0:1], v[98:99]
	v_cmp_le_u64_e64 s0, s[0:1], v[98:99]
	s_delay_alu instid0(VALU_DEP_1)
	s_and_saveexec_b32 s1, s0
	s_wait_alu 0xfffe
	s_xor_b32 s0, exec_lo, s1
; %bb.10:
	v_mul_u32_u24_e32 v1, 0x55, v1
	s_mov_b64 s[2:3], 0
                                        ; implicit-def: $vgpr4_vgpr5
	s_delay_alu instid0(VALU_DEP_1)
	v_sub_nc_u32_e32 v102, v0, v1
                                        ; implicit-def: $vgpr1
                                        ; implicit-def: $vgpr0
; %bb.11:
	s_wait_alu 0xfffe
	s_or_saveexec_b32 s1, s0
	v_dual_mov_b32 v101, s3 :: v_dual_mov_b32 v100, s2
	s_add_nc_u64 s[2:3], s[14:15], s[10:11]
                                        ; implicit-def: $vgpr2_vgpr3
                                        ; implicit-def: $vgpr6_vgpr7
                                        ; implicit-def: $vgpr10_vgpr11
                                        ; implicit-def: $vgpr14_vgpr15
                                        ; implicit-def: $vgpr18_vgpr19
                                        ; implicit-def: $vgpr26_vgpr27
                                        ; implicit-def: $vgpr30_vgpr31
                                        ; implicit-def: $vgpr34_vgpr35
                                        ; implicit-def: $vgpr38_vgpr39
                                        ; implicit-def: $vgpr42_vgpr43
                                        ; implicit-def: $vgpr46_vgpr47
                                        ; implicit-def: $vgpr50_vgpr51
                                        ; implicit-def: $vgpr66_vgpr67
                                        ; implicit-def: $vgpr62_vgpr63
                                        ; implicit-def: $vgpr58_vgpr59
                                        ; implicit-def: $vgpr54_vgpr55
                                        ; implicit-def: $vgpr22_vgpr23
	s_wait_alu 0xfffe
	s_xor_b32 exec_lo, exec_lo, s1
	s_cbranch_execz .LBB0_13
; %bb.12:
	s_add_nc_u64 s[10:11], s[12:13], s[10:11]
	v_mov_b32_e32 v103, 0
	s_load_b64 s[10:11], s[10:11], 0x0
	s_wait_kmcnt 0x0
	v_mul_lo_u32 v6, s11, v98
	v_mul_lo_u32 v7, s10, v99
	v_mad_co_u64_u32 v[2:3], null, s10, v98, 0
	s_delay_alu instid0(VALU_DEP_1) | instskip(SKIP_1) | instid1(VALU_DEP_2)
	v_add3_u32 v3, v3, v7, v6
	v_mul_u32_u24_e32 v6, 0x55, v1
	v_lshlrev_b64_e32 v[1:2], 4, v[2:3]
	v_lshlrev_b64_e32 v[3:4], 4, v[4:5]
	s_delay_alu instid0(VALU_DEP_3) | instskip(NEXT) | instid1(VALU_DEP_3)
	v_sub_nc_u32_e32 v102, v0, v6
	v_add_co_u32 v0, s0, s4, v1
	s_wait_alu 0xf1ff
	s_delay_alu instid0(VALU_DEP_4) | instskip(NEXT) | instid1(VALU_DEP_3)
	v_add_co_ci_u32_e64 v1, s0, s5, v2, s0
	v_lshlrev_b32_e32 v2, 4, v102
	s_delay_alu instid0(VALU_DEP_3) | instskip(SKIP_1) | instid1(VALU_DEP_3)
	v_add_co_u32 v0, s0, v0, v3
	s_wait_alu 0xf1ff
	v_add_co_ci_u32_e64 v1, s0, v1, v4, s0
	v_dual_mov_b32 v100, v102 :: v_dual_mov_b32 v101, v103
	s_delay_alu instid0(VALU_DEP_3) | instskip(SKIP_1) | instid1(VALU_DEP_3)
	v_add_co_u32 v0, s0, v0, v2
	s_wait_alu 0xf1ff
	v_add_co_ci_u32_e64 v1, s0, 0, v1, s0
	s_clause 0x10
	global_load_b128 v[20:23], v[0:1], off
	global_load_b128 v[52:55], v[0:1], off offset:1360
	global_load_b128 v[56:59], v[0:1], off offset:2720
	;; [unrolled: 1-line block ×16, first 2 shown]
.LBB0_13:
	s_or_b32 exec_lo, exec_lo, s1
	s_wait_loadcnt 0xf
	v_add_f64_e32 v[68:69], v[52:53], v[20:21]
	s_wait_loadcnt 0x0
	v_add_f64_e32 v[70:71], v[0:1], v[52:53]
	s_mov_b32 s4, 0x3259b75e
	s_mov_b32 s10, 0xc61f0d01
	;; [unrolled: 1-line block ×9, first 2 shown]
	v_add_f64_e64 v[72:73], v[54:55], -v[2:3]
	v_add_f64_e32 v[74:75], v[4:5], v[56:57]
	s_mov_b32 s19, 0xbfef7484
	s_mov_b32 s14, 0x2b2883cd
	;; [unrolled: 1-line block ×16, first 2 shown]
	v_add_f64_e64 v[76:77], v[58:59], -v[6:7]
	s_mov_b32 s57, 0x3fc7851a
	v_add_f64_e32 v[78:79], v[8:9], v[60:61]
	s_mov_b32 s31, 0xbfe9895b
	s_mov_b32 s41, 0xbfc7851a
	;; [unrolled: 1-line block ×6, first 2 shown]
	v_add_f64_e32 v[68:69], v[56:57], v[68:69]
	s_wait_alu 0xfffe
	v_mul_f64_e32 v[109:110], s[4:5], v[70:71]
	v_mul_f64_e32 v[111:112], s[10:11], v[70:71]
	;; [unrolled: 1-line block ×8, first 2 shown]
	s_mov_b32 s27, 0xbfeec746
	s_mov_b32 s28, 0x7c9e640b
	s_mov_b32 s34, 0x2a9d6da3
	v_mul_f64_e32 v[121:122], s[18:19], v[74:75]
	v_mul_f64_e32 v[125:126], s[16:17], v[74:75]
	;; [unrolled: 1-line block ×8, first 2 shown]
	s_mov_b32 s38, 0x5d8e7cdc
	s_mov_b32 s47, 0xbfefdd0d
	;; [unrolled: 1-line block ×9, first 2 shown]
	s_wait_alu 0xfffe
	s_mov_b32 s52, s28
	s_mov_b32 s48, s34
	;; [unrolled: 1-line block ×4, first 2 shown]
	v_add_f64_e64 v[80:81], v[62:63], -v[10:11]
	v_add_f64_e32 v[82:83], v[12:13], v[64:65]
	v_mul_f64_e32 v[131:132], s[10:11], v[78:79]
	v_mul_f64_e32 v[133:134], s[20:21], v[78:79]
	;; [unrolled: 1-line block ×3, first 2 shown]
	v_add_f64_e32 v[68:69], v[60:61], v[68:69]
	v_fma_f64 v[173:174], v[72:73], s[24:25], v[109:110]
	v_fma_f64 v[175:176], v[72:73], s[50:51], v[111:112]
	;; [unrolled: 1-line block ×16, first 2 shown]
	v_mul_f64_e32 v[137:138], s[4:5], v[78:79]
	v_mul_f64_e32 v[189:190], s[16:17], v[78:79]
	;; [unrolled: 1-line block ×5, first 2 shown]
	v_fma_f64 v[195:196], v[76:77], s[56:57], v[121:122]
	v_fma_f64 v[197:198], v[76:77], s[36:37], v[125:126]
	;; [unrolled: 1-line block ×16, first 2 shown]
	v_add_f64_e32 v[68:69], v[64:65], v[68:69]
	v_add_f64_e32 v[125:126], v[20:21], v[173:174]
	;; [unrolled: 1-line block ×17, first 2 shown]
	v_add_f64_e64 v[84:85], v[66:67], -v[14:15]
	v_add_f64_e32 v[86:87], v[16:17], v[48:49]
	v_mul_f64_e32 v[139:140], s[22:23], v[82:83]
	v_mul_f64_e32 v[141:142], s[14:15], v[82:83]
	v_mul_f64_e32 v[143:144], s[16:17], v[82:83]
	v_mul_f64_e32 v[145:146], s[12:13], v[82:83]
	v_mul_f64_e32 v[187:188], s[20:21], v[82:83]
	v_mul_f64_e32 v[211:212], s[4:5], v[82:83]
	v_mul_f64_e32 v[213:214], s[18:19], v[82:83]
	v_mul_f64_e32 v[82:83], s[10:11], v[82:83]
	v_fma_f64 v[215:216], v[80:81], s[26:27], v[131:132]
	v_fma_f64 v[217:218], v[80:81], s[48:49], v[133:134]
	;; [unrolled: 1-line block ×11, first 2 shown]
	v_add_f64_e32 v[68:69], v[48:49], v[68:69]
	v_fma_f64 v[193:194], v[80:81], s[30:31], v[193:194]
	v_fma_f64 v[229:230], v[80:81], s[40:41], v[78:79]
	;; [unrolled: 1-line block ×5, first 2 shown]
	v_add_f64_e32 v[125:126], v[195:196], v[125:126]
	v_add_f64_e32 v[133:134], v[197:198], v[173:174]
	;; [unrolled: 1-line block ×16, first 2 shown]
	v_add_f64_e64 v[88:89], v[50:51], -v[18:19]
	v_add_f64_e32 v[90:91], v[24:25], v[44:45]
	v_mul_f64_e32 v[147:148], s[14:15], v[86:87]
	v_mul_f64_e32 v[149:150], s[18:19], v[86:87]
	;; [unrolled: 1-line block ×8, first 2 shown]
	v_fma_f64 v[177:178], v[84:85], s[44:45], v[139:140]
	v_fma_f64 v[179:180], v[84:85], s[28:29], v[141:142]
	;; [unrolled: 1-line block ×6, first 2 shown]
	v_add_f64_e32 v[68:69], v[44:45], v[68:69]
	v_fma_f64 v[185:186], v[84:85], s[48:49], v[187:188]
	v_fma_f64 v[187:188], v[84:85], s[34:35], v[187:188]
	;; [unrolled: 1-line block ×10, first 2 shown]
	v_add_f64_e32 v[84:85], v[215:216], v[125:126]
	v_add_f64_e32 v[125:126], v[217:218], v[133:134]
	;; [unrolled: 1-line block ×16, first 2 shown]
	v_add_f64_e64 v[92:93], v[46:47], -v[26:27]
	v_add_f64_e32 v[94:95], v[28:29], v[40:41]
	v_mul_f64_e32 v[157:158], s[16:17], v[90:91]
	v_mul_f64_e32 v[161:162], s[4:5], v[90:91]
	v_fma_f64 v[155:156], v[88:89], s[28:29], v[147:148]
	v_fma_f64 v[175:176], v[88:89], s[56:57], v[149:150]
	;; [unrolled: 1-line block ×7, first 2 shown]
	v_add_f64_e32 v[68:69], v[40:41], v[68:69]
	v_fma_f64 v[123:124], v[88:89], s[30:31], v[123:124]
	v_fma_f64 v[205:206], v[88:89], s[50:51], v[159:160]
	;; [unrolled: 1-line block ×9, first 2 shown]
	v_mul_f64_e32 v[165:166], s[20:21], v[90:91]
	v_add_f64_e32 v[84:85], v[177:178], v[84:85]
	v_add_f64_e32 v[88:89], v[179:180], v[125:126]
	v_mul_f64_e32 v[167:168], s[18:19], v[90:91]
	v_mul_f64_e32 v[111:112], s[14:15], v[90:91]
	;; [unrolled: 1-line block ×5, first 2 shown]
	v_add_f64_e32 v[125:126], v[181:182], v[133:134]
	v_add_f64_e32 v[133:134], v[183:184], v[173:174]
	v_add_f64_e32 v[113:114], v[143:144], v[113:114]
	v_add_f64_e32 v[127:128], v[185:186], v[127:128]
	v_add_f64_e32 v[117:118], v[187:188], v[117:118]
	v_add_f64_e32 v[115:116], v[145:146], v[115:116]
	v_add_f64_e32 v[109:110], v[139:140], v[109:110]
	v_add_f64_e32 v[76:77], v[141:142], v[76:77]
	v_add_f64_e32 v[129:130], v[195:196], v[129:130]
	v_add_f64_e32 v[135:136], v[201:202], v[135:136]
	v_add_f64_e32 v[74:75], v[203:204], v[74:75]
	v_add_f64_e32 v[119:120], v[197:198], v[119:120]
	v_add_f64_e32 v[78:79], v[199:200], v[78:79]
	v_add_f64_e32 v[20:21], v[82:83], v[20:21]
	v_add_f64_e64 v[103:104], v[42:43], -v[30:31]
	v_add_f64_e32 v[105:106], v[32:33], v[36:37]
	v_mul_f64_e32 v[169:170], s[12:13], v[94:95]
	v_mul_f64_e32 v[171:172], s[22:23], v[94:95]
	v_fma_f64 v[145:146], v[92:93], s[54:55], v[157:158]
	v_fma_f64 v[173:174], v[92:93], s[46:47], v[161:162]
	v_add_f64_e32 v[68:69], v[36:37], v[68:69]
	v_mul_f64_e32 v[72:73], s[18:19], v[94:95]
	v_mul_f64_e32 v[70:71], s[20:21], v[94:95]
	;; [unrolled: 1-line block ×6, first 2 shown]
	v_fma_f64 v[157:158], v[92:93], s[36:37], v[157:158]
	v_fma_f64 v[161:162], v[92:93], s[24:25], v[161:162]
	v_add_f64_e64 v[107:108], v[38:39], -v[34:35]
	v_fma_f64 v[177:178], v[92:93], s[34:35], v[165:166]
	v_add_f64_e32 v[84:85], v[155:156], v[84:85]
	v_add_f64_e32 v[88:89], v[175:176], v[88:89]
	v_fma_f64 v[179:180], v[92:93], s[56:57], v[167:168]
	v_fma_f64 v[165:166], v[92:93], s[48:49], v[165:166]
	;; [unrolled: 1-line block ×11, first 2 shown]
	v_add_f64_e32 v[92:93], v[189:190], v[125:126]
	v_add_f64_e32 v[125:126], v[191:192], v[133:134]
	;; [unrolled: 1-line block ×15, first 2 shown]
	v_mul_f64_e32 v[121:122], s[20:21], v[105:106]
	v_mul_f64_e32 v[80:81], s[12:13], v[105:106]
	v_fma_f64 v[149:150], v[103:104], s[30:31], v[169:170]
	v_fma_f64 v[151:152], v[103:104], s[38:39], v[171:172]
	v_mul_f64_e32 v[82:83], s[14:15], v[105:106]
	v_mul_f64_e32 v[86:87], s[10:11], v[105:106]
	v_fma_f64 v[153:154], v[103:104], s[56:57], v[72:73]
	v_fma_f64 v[155:156], v[103:104], s[48:49], v[70:71]
	;; [unrolled: 1-line block ×4, first 2 shown]
	v_add_f64_e32 v[84:85], v[145:146], v[84:85]
	v_add_f64_e32 v[88:89], v[173:174], v[88:89]
	v_fma_f64 v[159:160], v[103:104], s[50:51], v[139:140]
	v_fma_f64 v[139:140], v[103:104], s[26:27], v[139:140]
	;; [unrolled: 1-line block ×10, first 2 shown]
	v_mul_f64_e32 v[133:134], s[4:5], v[105:106]
	v_add_f64_e32 v[92:93], v[177:178], v[92:93]
	v_add_f64_e32 v[103:104], v[179:180], v[125:126]
	v_mul_f64_e32 v[135:136], s[18:19], v[105:106]
	v_mul_f64_e32 v[147:148], s[22:23], v[105:106]
	;; [unrolled: 1-line block ×3, first 2 shown]
	v_add_f64_e32 v[113:114], v[165:166], v[113:114]
	v_add_f64_e32 v[125:126], v[181:182], v[127:128]
	;; [unrolled: 1-line block ×13, first 2 shown]
	v_fma_f64 v[90:91], v[107:108], s[48:49], v[121:122]
	v_fma_f64 v[127:128], v[107:108], s[42:43], v[80:81]
	;; [unrolled: 1-line block ×7, first 2 shown]
	v_add_f64_e32 v[84:85], v[149:150], v[84:85]
	v_add_f64_e32 v[88:89], v[151:152], v[88:89]
	v_fma_f64 v[80:81], v[107:108], s[30:31], v[80:81]
	s_load_b64 s[2:3], s[2:3], 0x0
	v_cmp_gt_u32_e64 s0, 34, v102
	v_fma_f64 v[137:138], v[107:108], s[46:47], v[133:134]
	v_add_f64_e32 v[92:93], v[153:154], v[92:93]
	v_add_f64_e32 v[103:104], v[155:156], v[103:104]
	v_fma_f64 v[133:134], v[107:108], s[24:25], v[133:134]
	v_fma_f64 v[145:146], v[107:108], s[56:57], v[135:136]
	v_fma_f64 v[135:136], v[107:108], s[40:41], v[135:136]
	v_fma_f64 v[157:158], v[107:108], s[44:45], v[147:148]
	v_fma_f64 v[147:148], v[107:108], s[38:39], v[147:148]
	v_fma_f64 v[161:162], v[107:108], s[36:37], v[105:106]
	v_fma_f64 v[107:108], v[107:108], s[54:55], v[105:106]
	v_add_f64_e32 v[72:73], v[72:73], v[113:114]
	v_add_f64_e32 v[105:106], v[159:160], v[125:126]
	;; [unrolled: 1-line block ×30, first 2 shown]
	v_mad_u32_u24 v20, 0x88, v102, 0
	v_lshlrev_b32_e32 v21, 7, v102
                                        ; implicit-def: $vgpr107_vgpr108
                                        ; implicit-def: $vgpr111_vgpr112
	s_delay_alu instid0(VALU_DEP_1) | instskip(NEXT) | instid1(VALU_DEP_1)
	v_sub_nc_u32_e32 v132, v20, v21
	v_add_nc_u32_e32 v21, 0x400, v132
	v_add_nc_u32_e32 v115, 0x1000, v132
	;; [unrolled: 1-line block ×6, first 2 shown]
	v_add_f64_e32 v[68:69], v[12:13], v[68:69]
	s_delay_alu instid0(VALU_DEP_1) | instskip(NEXT) | instid1(VALU_DEP_1)
	v_add_f64_e32 v[68:69], v[8:9], v[68:69]
	v_add_f64_e32 v[68:69], v[4:5], v[68:69]
	s_delay_alu instid0(VALU_DEP_1)
	v_add_f64_e32 v[68:69], v[0:1], v[68:69]
	ds_store_2addr_b64 v20, v[84:85], v[88:89] offset0:4 offset1:5
	ds_store_2addr_b64 v20, v[90:91], v[92:93] offset0:6 offset1:7
	;; [unrolled: 1-line block ×6, first 2 shown]
	ds_store_b64 v20, v[105:106] offset:128
	ds_store_2addr_b64 v20, v[68:69], v[86:87] offset1:1
	ds_store_2addr_b64 v20, v[78:79], v[80:81] offset0:2 offset1:3
	global_wb scope:SCOPE_SE
	s_wait_dscnt 0x0
	s_wait_kmcnt 0x0
	s_barrier_signal -1
	s_barrier_wait -1
	global_inv scope:SCOPE_SE
	ds_load_2addr_b64 v[72:75], v132 offset1:85
	ds_load_b64 v[113:114], v132 offset:10608
	ds_load_2addr_b64 v[68:71], v21 offset0:42 offset1:161
	ds_load_2addr_b64 v[88:91], v115 offset0:66 offset1:151
	;; [unrolled: 1-line block ×6, first 2 shown]
                                        ; implicit-def: $vgpr109_vgpr110
	s_and_saveexec_b32 s1, s0
	s_cbranch_execz .LBB0_15
; %bb.14:
	ds_load_b64 v[103:104], v132 offset:2040
	ds_load_b64 v[105:106], v132 offset:4352
	;; [unrolled: 1-line block ×5, first 2 shown]
.LBB0_15:
	s_wait_alu 0xfffe
	s_or_b32 exec_lo, exec_lo, s1
	v_add_f64_e32 v[120:121], v[54:55], v[22:23]
	v_add_f64_e64 v[0:1], v[52:53], -v[0:1]
	v_add_f64_e64 v[4:5], v[56:57], -v[4:5]
	;; [unrolled: 1-line block ×3, first 2 shown]
	v_add_f64_e32 v[54:55], v[2:3], v[54:55]
	v_add_f64_e32 v[56:57], v[6:7], v[58:59]
	;; [unrolled: 1-line block ×3, first 2 shown]
	v_add_f64_e64 v[16:17], v[48:49], -v[16:17]
	v_add_f64_e64 v[28:29], v[40:41], -v[28:29]
	;; [unrolled: 1-line block ×4, first 2 shown]
	v_add_f64_e32 v[44:45], v[30:31], v[42:43]
	v_add_f64_e64 v[12:13], v[64:65], -v[12:13]
	v_add_f64_e32 v[64:65], v[34:35], v[38:39]
	global_wb scope:SCOPE_SE
	s_wait_dscnt 0x0
	s_barrier_signal -1
	s_barrier_wait -1
	global_inv scope:SCOPE_SE
	v_add_f64_e32 v[120:121], v[58:59], v[120:121]
	v_add_f64_e32 v[58:59], v[10:11], v[62:63]
	v_mul_f64_e32 v[48:49], s[44:45], v[0:1]
	v_mul_f64_e32 v[40:41], s[48:49], v[0:1]
	;; [unrolled: 1-line block ×32, first 2 shown]
	v_add_f64_e32 v[120:121], v[62:63], v[120:121]
	v_mul_f64_e32 v[62:63], s[46:47], v[0:1]
	v_fma_f64 v[169:170], v[54:55], s[22:23], v[48:49]
	v_fma_f64 v[48:49], v[54:55], s[22:23], -v[48:49]
	v_fma_f64 v[171:172], v[54:55], s[20:21], -v[40:41]
	v_fma_f64 v[179:180], v[54:55], s[16:17], v[36:37]
	v_fma_f64 v[181:182], v[54:55], s[18:19], v[122:123]
	v_fma_f64 v[122:123], v[54:55], s[18:19], -v[122:123]
	v_fma_f64 v[36:37], v[54:55], s[16:17], -v[36:37]
	v_fma_f64 v[40:41], v[54:55], s[20:21], v[40:41]
	v_fma_f64 v[191:192], v[56:57], s[20:21], v[124:125]
	v_fma_f64 v[124:125], v[56:57], s[20:21], -v[124:125]
	v_fma_f64 v[193:194], v[56:57], s[4:5], v[126:127]
	v_fma_f64 v[126:127], v[56:57], s[4:5], -v[126:127]
	;; [unrolled: 2-line block ×14, first 2 shown]
	v_add_f64_e32 v[120:121], v[66:67], v[120:121]
	v_mul_f64_e32 v[66:67], s[26:27], v[0:1]
	v_fma_f64 v[173:174], v[54:55], s[4:5], v[62:63]
	v_fma_f64 v[62:63], v[54:55], s[4:5], -v[62:63]
	v_add_f64_e32 v[48:49], v[22:23], v[48:49]
	v_add_f64_e32 v[122:123], v[22:23], v[122:123]
	;; [unrolled: 1-line block ×5, first 2 shown]
	v_fma_f64 v[175:176], v[54:55], s[10:11], v[66:67]
	v_fma_f64 v[66:67], v[54:55], s[10:11], -v[66:67]
	v_add_f64_e32 v[62:63], v[22:23], v[62:63]
	v_add_f64_e32 v[48:49], v[124:125], v[48:49]
	;; [unrolled: 1-line block ×5, first 2 shown]
	v_fma_f64 v[193:194], v[60:61], s[20:21], v[12:13]
	v_fma_f64 v[12:13], v[60:61], s[20:21], -v[12:13]
	v_mul_f64_e32 v[135:136], s[36:37], v[28:29]
	v_add_f64_e32 v[52:53], v[46:47], v[120:121]
	v_mul_f64_e32 v[120:121], s[30:31], v[0:1]
	v_mul_f64_e32 v[0:1], s[52:53], v[0:1]
	v_add_f64_e32 v[66:67], v[22:23], v[66:67]
	v_add_f64_e32 v[62:63], v[130:131], v[62:63]
	;; [unrolled: 1-line block ×4, first 2 shown]
	v_mul_f64_e32 v[137:138], s[42:43], v[28:29]
	v_add_f64_e32 v[40:41], v[211:212], v[40:41]
	v_add_f64_e32 v[42:43], v[42:43], v[52:53]
	v_mul_f64_e32 v[52:53], s[50:51], v[4:5]
	v_mul_f64_e32 v[4:5], s[38:39], v[4:5]
	v_fma_f64 v[177:178], v[54:55], s[12:13], v[120:121]
	v_fma_f64 v[120:121], v[54:55], s[12:13], -v[120:121]
	v_fma_f64 v[183:184], v[54:55], s[14:15], -v[0:1]
	v_fma_f64 v[0:1], v[54:55], s[14:15], v[0:1]
	v_add_f64_e32 v[66:67], v[133:134], v[66:67]
	v_mul_f64_e32 v[54:55], s[52:53], v[16:17]
	v_add_f64_e32 v[62:63], v[143:144], v[62:63]
	v_mul_f64_e32 v[133:134], s[40:41], v[24:25]
	v_fma_f64 v[143:144], v[50:51], s[10:11], v[165:166]
	v_add_f64_e32 v[38:39], v[38:39], v[42:43]
	v_fma_f64 v[201:202], v[56:57], s[10:11], v[52:53]
	v_fma_f64 v[52:53], v[56:57], s[10:11], -v[52:53]
	v_fma_f64 v[205:206], v[56:57], s[22:23], v[4:5]
	v_fma_f64 v[4:5], v[56:57], s[22:23], -v[4:5]
	v_add_f64_e32 v[56:57], v[22:23], v[169:170]
	v_add_f64_e32 v[169:170], v[22:23], v[171:172]
	;; [unrolled: 1-line block ×10, first 2 shown]
	v_mul_f64_e32 v[42:43], s[34:35], v[16:17]
	v_mul_f64_e32 v[16:17], s[30:31], v[16:17]
	;; [unrolled: 1-line block ×3, first 2 shown]
	v_add_f64_e32 v[22:23], v[34:35], v[38:39]
	v_mul_f64_e32 v[34:35], s[30:31], v[24:25]
	v_mul_f64_e32 v[38:39], s[50:51], v[24:25]
	v_add_f64_e32 v[4:5], v[4:5], v[122:123]
	v_add_f64_e32 v[56:57], v[191:192], v[56:57]
	;; [unrolled: 1-line block ×11, first 2 shown]
	v_fma_f64 v[171:172], v[60:61], s[4:5], v[151:152]
	v_fma_f64 v[151:152], v[60:61], s[4:5], -v[151:152]
	v_fma_f64 v[173:174], v[60:61], s[18:19], v[153:154]
	v_fma_f64 v[153:154], v[60:61], s[18:19], -v[153:154]
	;; [unrolled: 2-line block ×7, first 2 shown]
	v_mul_f64_e32 v[128:129], s[48:49], v[24:25]
	v_fma_f64 v[195:196], v[50:51], s[4:5], v[187:188]
	v_fma_f64 v[187:188], v[50:51], s[4:5], -v[187:188]
	v_fma_f64 v[197:198], v[50:51], s[22:23], v[189:190]
	v_fma_f64 v[189:190], v[50:51], s[22:23], -v[189:190]
	;; [unrolled: 2-line block ×3, first 2 shown]
	v_add_f64_e32 v[22:23], v[30:31], v[22:23]
	v_mul_f64_e32 v[30:31], s[24:25], v[24:25]
	v_mul_f64_e32 v[24:25], s[28:29], v[24:25]
	v_add_f64_e32 v[4:5], v[8:9], v[4:5]
	v_add_f64_e32 v[56:57], v[209:210], v[56:57]
	v_add_f64_e32 v[58:59], v[139:140], v[58:59]
	v_add_f64_e32 v[60:61], v[215:216], v[124:125]
	v_add_f64_e32 v[124:125], v[217:218], v[126:127]
	v_add_f64_e32 v[126:127], v[219:220], v[130:131]
	v_add_f64_e32 v[52:53], v[147:148], v[52:53]
	v_add_f64_e32 v[120:121], v[221:222], v[120:121]
	v_add_f64_e32 v[130:131], v[223:224], v[169:170]
	v_add_f64_e32 v[8:9], v[149:150], v[36:37]
	v_add_f64_e32 v[36:37], v[145:146], v[66:67]
	v_add_f64_e32 v[66:67], v[141:142], v[122:123]
	v_add_f64_e32 v[0:1], v[213:214], v[0:1]
	v_fma_f64 v[145:146], v[50:51], s[10:11], -v[165:166]
	v_fma_f64 v[147:148], v[50:51], s[16:17], v[167:168]
	v_fma_f64 v[149:150], v[50:51], s[16:17], -v[167:168]
	v_fma_f64 v[165:166], v[50:51], s[20:21], v[42:43]
	;; [unrolled: 2-line block ×4, first 2 shown]
	v_fma_f64 v[185:186], v[50:51], s[18:19], -v[185:186]
	v_add_f64_e32 v[48:49], v[151:152], v[48:49]
	v_add_f64_e32 v[40:41], v[173:174], v[40:41]
	v_mul_f64_e32 v[122:123], s[46:47], v[28:29]
	v_mul_f64_e32 v[139:140], s[44:45], v[28:29]
	;; [unrolled: 1-line block ×3, first 2 shown]
	v_fma_f64 v[173:174], v[46:47], s[20:21], v[128:129]
	v_fma_f64 v[128:129], v[46:47], s[20:21], -v[128:129]
	v_mul_f64_e32 v[151:152], s[36:37], v[32:33]
	v_add_f64_e32 v[22:23], v[26:27], v[22:23]
	v_mul_f64_e32 v[26:27], s[28:29], v[28:29]
	v_add_f64_e32 v[4:5], v[12:13], v[4:5]
	v_add_f64_e32 v[50:51], v[171:172], v[56:57]
	;; [unrolled: 1-line block ×14, first 2 shown]
	v_fma_f64 v[153:154], v[46:47], s[12:13], v[34:35]
	v_fma_f64 v[34:35], v[46:47], s[12:13], -v[34:35]
	v_fma_f64 v[155:156], v[46:47], s[10:11], v[38:39]
	v_fma_f64 v[38:39], v[46:47], s[10:11], -v[38:39]
	v_fma_f64 v[157:158], v[46:47], s[22:23], v[183:184]
	v_fma_f64 v[159:160], v[46:47], s[22:23], -v[183:184]
	v_fma_f64 v[161:162], v[46:47], s[16:17], v[207:208]
	v_fma_f64 v[163:164], v[46:47], s[16:17], -v[207:208]
	v_fma_f64 v[171:172], v[46:47], s[4:5], v[30:31]
	v_fma_f64 v[30:31], v[46:47], s[4:5], -v[30:31]
	v_fma_f64 v[175:176], v[46:47], s[18:19], v[133:134]
	v_fma_f64 v[133:134], v[46:47], s[18:19], -v[133:134]
	v_fma_f64 v[177:178], v[46:47], s[14:15], v[24:25]
	v_fma_f64 v[24:25], v[46:47], s[14:15], -v[24:25]
	v_add_f64_e32 v[48:49], v[145:146], v[48:49]
	v_mul_f64_e32 v[66:67], s[40:41], v[32:33]
	v_mul_f64_e32 v[130:131], s[38:39], v[32:33]
	v_fma_f64 v[145:146], v[44:45], s[4:5], v[122:123]
	v_fma_f64 v[122:123], v[44:45], s[4:5], -v[122:123]
	v_add_f64_e32 v[18:19], v[18:19], v[22:23]
	v_mul_f64_e32 v[22:23], s[34:35], v[28:29]
	v_mul_f64_e32 v[28:29], s[26:27], v[28:29]
	v_add_f64_e32 v[4:5], v[16:17], v[4:5]
	v_add_f64_e32 v[46:47], v[143:144], v[50:51]
	;; [unrolled: 1-line block ×15, first 2 shown]
	v_mul_f64_e32 v[40:41], s[30:31], v[32:33]
	v_mul_f64_e32 v[42:43], s[28:29], v[32:33]
	;; [unrolled: 1-line block ×3, first 2 shown]
	v_fma_f64 v[126:127], v[44:45], s[16:17], v[135:136]
	v_fma_f64 v[135:136], v[44:45], s[16:17], -v[135:136]
	v_fma_f64 v[143:144], v[44:45], s[14:15], v[26:27]
	v_fma_f64 v[26:27], v[44:45], s[14:15], -v[26:27]
	;; [unrolled: 2-line block ×5, first 2 shown]
	v_add_f64_e32 v[34:35], v[34:35], v[48:49]
	v_add_f64_e32 v[14:15], v[14:15], v[18:19]
	v_mul_f64_e32 v[18:19], s[34:35], v[32:33]
	v_mul_f64_e32 v[32:33], s[24:25], v[32:33]
	v_fma_f64 v[167:168], v[44:45], s[20:21], v[22:23]
	v_fma_f64 v[22:23], v[44:45], s[20:21], -v[22:23]
	v_fma_f64 v[169:170], v[44:45], s[10:11], v[28:29]
	v_fma_f64 v[28:29], v[44:45], s[10:11], -v[28:29]
	v_add_f64_e32 v[44:45], v[153:154], v[46:47]
	v_add_f64_e32 v[38:39], v[38:39], v[50:51]
	;; [unrolled: 1-line block ×15, first 2 shown]
	v_fma_f64 v[30:31], v[64:65], s[18:19], -v[66:67]
	v_fma_f64 v[36:37], v[64:65], s[22:23], v[130:131]
	v_fma_f64 v[60:61], v[64:65], s[22:23], -v[130:131]
	v_fma_f64 v[62:63], v[64:65], s[16:17], v[151:152]
	v_fma_f64 v[128:129], v[64:65], s[12:13], v[40:41]
	v_fma_f64 v[40:41], v[64:65], s[12:13], -v[40:41]
	v_fma_f64 v[130:131], v[64:65], s[14:15], v[42:43]
	v_fma_f64 v[42:43], v[64:65], s[14:15], -v[42:43]
	v_fma_f64 v[133:134], v[64:65], s[10:11], v[124:125]
	v_fma_f64 v[124:125], v[64:65], s[10:11], -v[124:125]
	v_add_f64_e32 v[34:35], v[135:136], v[34:35]
	v_add_f64_e32 v[10:11], v[10:11], v[14:15]
	v_fma_f64 v[14:15], v[64:65], s[18:19], v[66:67]
	v_fma_f64 v[66:67], v[64:65], s[16:17], -v[151:152]
	v_fma_f64 v[120:121], v[64:65], s[20:21], v[18:19]
	v_fma_f64 v[18:19], v[64:65], s[20:21], -v[18:19]
	v_fma_f64 v[151:152], v[64:65], s[4:5], v[32:33]
	v_fma_f64 v[64:65], v[64:65], s[4:5], -v[32:33]
	v_add_f64_e32 v[32:33], v[126:127], v[44:45]
	v_add_f64_e32 v[26:27], v[26:27], v[38:39]
	v_add_f64_e32 v[38:39], v[147:148], v[46:47]
	v_add_f64_e32 v[46:47], v[149:150], v[50:51]
	v_add_f64_e32 v[44:45], v[137:138], v[48:49]
	v_add_f64_e32 v[48:49], v[165:166], v[54:55]
	v_add_f64_e32 v[50:51], v[141:142], v[52:53]
	v_add_f64_e32 v[52:53], v[167:168], v[56:57]
	v_add_f64_e32 v[54:55], v[169:170], v[58:59]
	v_add_f64_e32 v[4:5], v[28:29], v[4:5]
	v_add_f64_e32 v[8:9], v[22:23], v[8:9]
	v_add_f64_e32 v[12:13], v[139:140], v[12:13]
	v_add_f64_e32 v[16:17], v[122:123], v[16:17]
	v_add_f64_e32 v[22:23], v[143:144], v[24:25]
	v_add_f64_e32 v[0:1], v[145:146], v[0:1]
	v_add_f64_e32 v[28:29], v[30:31], v[34:35]
	v_add_f64_e32 v[6:7], v[6:7], v[10:11]
	v_add_f64_e32 v[10:11], v[14:15], v[32:33]
	v_add_f64_e32 v[32:33], v[60:61], v[26:27]
	v_add_f64_e32 v[14:15], v[120:121], v[38:39]
	v_add_f64_e32 v[24:25], v[128:129], v[46:47]
	v_add_f64_e32 v[18:19], v[18:19], v[44:45]
	v_add_f64_e32 v[26:27], v[130:131], v[48:49]
	v_add_f64_e32 v[30:31], v[42:43], v[50:51]
	v_add_f64_e32 v[34:35], v[133:134], v[52:53]
	v_add_f64_e32 v[38:39], v[151:152], v[54:55]
	v_add_f64_e32 v[4:5], v[64:65], v[4:5]
	v_add_f64_e32 v[8:9], v[124:125], v[8:9]
	v_add_f64_e32 v[12:13], v[40:41], v[12:13]
	v_add_f64_e32 v[16:17], v[66:67], v[16:17]
	v_add_f64_e32 v[22:23], v[36:37], v[22:23]
	v_add_f64_e32 v[0:1], v[62:63], v[0:1]
                                        ; implicit-def: $vgpr36_vgpr37
	v_add_f64_e32 v[2:3], v[2:3], v[6:7]
	ds_store_2addr_b64 v20, v[14:15], v[24:25] offset0:4 offset1:5
	ds_store_2addr_b64 v20, v[26:27], v[34:35] offset0:6 offset1:7
	ds_store_2addr_b64 v20, v[38:39], v[4:5] offset0:8 offset1:9
	ds_store_2addr_b64 v20, v[8:9], v[30:31] offset0:10 offset1:11
	ds_store_2addr_b64 v20, v[12:13], v[18:19] offset0:12 offset1:13
	ds_store_2addr_b64 v20, v[16:17], v[32:33] offset0:14 offset1:15
	ds_store_b64 v20, v[28:29] offset:128
	ds_store_2addr_b64 v20, v[22:23], v[0:1] offset0:2 offset1:3
	ds_store_2addr_b64 v20, v[2:3], v[10:11] offset1:1
	global_wb scope:SCOPE_SE
	s_wait_dscnt 0x0
	s_barrier_signal -1
	s_barrier_wait -1
	global_inv scope:SCOPE_SE
	ds_load_2addr_b64 v[4:7], v132 offset1:85
	ds_load_2addr_b64 v[0:3], v21 offset0:42 offset1:161
	ds_load_2addr_b64 v[20:23], v115 offset0:66 offset1:151
	;; [unrolled: 1-line block ×6, first 2 shown]
	ds_load_b64 v[64:65], v132 offset:10608
                                        ; implicit-def: $vgpr30_vgpr31
                                        ; implicit-def: $vgpr34_vgpr35
	s_and_saveexec_b32 s1, s0
	s_cbranch_execz .LBB0_17
; %bb.16:
	ds_load_b64 v[32:33], v132 offset:2040
	ds_load_b64 v[28:29], v132 offset:4352
	;; [unrolled: 1-line block ×5, first 2 shown]
.LBB0_17:
	s_wait_alu 0xfffe
	s_or_b32 exec_lo, exec_lo, s1
	v_add_nc_u16 v38, v102, 0x55
	v_and_b32_e32 v39, 0xff, v102
	v_add_nc_u16 v40, v102, 0xaa
	s_mov_b32 s4, 0x134454ff
	s_mov_b32 s5, 0x3fee6f0e
	v_and_b32_e32 v41, 0xff, v38
	v_mul_lo_u16 v39, 0xf1, v39
	v_and_b32_e32 v42, 0xff, v40
	s_mov_b32 s11, 0xbfee6f0e
	s_wait_alu 0xfffe
	s_mov_b32 s10, s4
	v_mul_lo_u16 v41, 0xf1, v41
	v_lshrrev_b16 v131, 12, v39
	v_mul_lo_u16 v39, 0xf1, v42
	s_mov_b32 s12, 0x4755a5e
	s_mov_b32 s13, 0x3fe2cf23
	v_lshrrev_b16 v187, 12, v41
	v_mul_lo_u16 v41, v131, 17
	v_lshrrev_b16 v188, 12, v39
	s_mov_b32 s15, 0xbfe2cf23
	s_wait_alu 0xfffe
	s_mov_b32 s14, s12
	v_mul_lo_u16 v39, v187, 17
	v_sub_nc_u16 v41, v102, v41
	v_mul_lo_u16 v42, v188, 17
	s_mov_b32 s16, 0x372fe950
	s_mov_b32 s17, 0x3fd3c6ef
	v_sub_nc_u16 v38, v38, v39
	v_and_b32_e32 v189, 0xff, v41
	v_sub_nc_u16 v39, v40, v42
	s_delay_alu instid0(VALU_DEP_3) | instskip(NEXT) | instid1(VALU_DEP_3)
	v_and_b32_e32 v190, 0xff, v38
	v_lshlrev_b32_e32 v42, 6, v189
	s_delay_alu instid0(VALU_DEP_3)
	v_and_b32_e32 v191, 0xff, v39
	s_clause 0x3
	global_load_b128 v[115:118], v42, s[8:9] offset:16
	global_load_b128 v[38:41], v42, s[8:9]
	global_load_b128 v[119:122], v42, s[8:9] offset:48
	global_load_b128 v[123:126], v42, s[8:9] offset:32
	v_lshlrev_b32_e32 v43, 6, v190
	v_lshlrev_b32_e32 v42, 6, v191
	s_clause 0x7
	global_load_b128 v[127:130], v43, s[8:9]
	global_load_b128 v[133:136], v43, s[8:9] offset:16
	global_load_b128 v[137:140], v43, s[8:9] offset:32
	;; [unrolled: 1-line block ×3, first 2 shown]
	global_load_b128 v[145:148], v42, s[8:9]
	global_load_b128 v[149:152], v42, s[8:9] offset:16
	global_load_b128 v[153:156], v42, s[8:9] offset:32
	;; [unrolled: 1-line block ×3, first 2 shown]
	v_add_nc_u32_e32 v42, 0xff, v102
	s_delay_alu instid0(VALU_DEP_1) | instskip(NEXT) | instid1(VALU_DEP_1)
	v_and_b32_e32 v43, 0xffff, v42
	v_mul_u32_u24_e32 v43, 0xf0f1, v43
	s_delay_alu instid0(VALU_DEP_1) | instskip(NEXT) | instid1(VALU_DEP_1)
	v_lshrrev_b32_e32 v192, 20, v43
	v_mul_lo_u16 v43, v192, 17
	s_delay_alu instid0(VALU_DEP_1) | instskip(NEXT) | instid1(VALU_DEP_1)
	v_sub_nc_u16 v42, v42, v43
	v_and_b32_e32 v193, 0xffff, v42
	s_delay_alu instid0(VALU_DEP_1)
	v_lshlrev_b32_e32 v42, 6, v193
	s_clause 0x3
	global_load_b128 v[161:164], v42, s[8:9]
	global_load_b128 v[165:168], v42, s[8:9] offset:16
	global_load_b128 v[169:172], v42, s[8:9] offset:32
	;; [unrolled: 1-line block ×3, first 2 shown]
	global_wb scope:SCOPE_SE
	s_wait_loadcnt_dscnt 0x0
	s_barrier_signal -1
	s_barrier_wait -1
	global_inv scope:SCOPE_SE
	v_mul_f64_e32 v[44:45], v[20:21], v[117:118]
	v_mul_f64_e32 v[42:43], v[2:3], v[40:41]
	;; [unrolled: 1-line block ×24, first 2 shown]
	v_fma_f64 v[54:55], v[88:89], v[115:116], -v[44:45]
	v_fma_f64 v[52:53], v[70:71], v[38:39], -v[42:43]
	;; [unrolled: 1-line block ×12, first 2 shown]
	v_fma_f64 v[38:39], v[2:3], v[38:39], v[185:186]
	v_fma_f64 v[2:3], v[24:25], v[119:120], v[121:122]
	;; [unrolled: 1-line block ×12, first 2 shown]
	v_mul_f64_e32 v[149:150], v[28:29], v[163:164]
	v_mul_f64_e32 v[151:152], v[105:106], v[163:164]
	;; [unrolled: 1-line block ×7, first 2 shown]
	v_add_f64_e32 v[82:83], v[72:73], v[52:53]
	v_add_f64_e32 v[70:71], v[52:53], v[62:63]
	;; [unrolled: 1-line block ×4, first 2 shown]
	v_add_f64_e64 v[113:114], v[62:63], -v[56:57]
	v_add_f64_e32 v[76:77], v[40:41], v[46:47]
	v_add_f64_e32 v[64:65], v[44:45], v[58:59]
	;; [unrolled: 1-line block ×3, first 2 shown]
	v_add_f64_e64 v[115:116], v[54:55], -v[52:53]
	v_add_f64_e32 v[78:79], v[42:43], v[50:51]
	v_add_f64_e32 v[80:81], v[48:49], v[60:61]
	v_add_f64_e64 v[117:118], v[56:57], -v[62:63]
	v_add_f64_e64 v[84:85], v[38:39], -v[2:3]
	;; [unrolled: 1-line block ×13, first 2 shown]
	v_add_f64_e32 v[82:83], v[82:83], v[54:55]
	v_fma_f64 v[70:71], v[70:71], -0.5, v[72:73]
	v_fma_f64 v[66:67], v[66:67], -0.5, v[72:73]
	v_add_f64_e64 v[72:73], v[22:23], -v[16:17]
	v_add_f64_e32 v[88:89], v[88:89], v[40:41]
	v_fma_f64 v[76:77], v[76:77], -0.5, v[74:75]
	v_fma_f64 v[64:65], v[64:65], -0.5, v[74:75]
	v_add_f64_e64 v[74:75], v[26:27], -v[10:11]
	;; [unrolled: 4-line block ×3, first 2 shown]
	v_add_f64_e32 v[82:83], v[82:83], v[56:57]
	v_fma_f64 v[139:140], v[86:87], s[10:11], v[70:71]
	v_fma_f64 v[137:138], v[84:85], s[4:5], v[66:67]
	;; [unrolled: 1-line block ×12, first 2 shown]
	v_add_f64_e32 v[80:81], v[80:81], v[113:114]
	v_add_f64_e32 v[113:114], v[115:116], v[117:118]
	;; [unrolled: 1-line block ×8, first 2 shown]
	v_fma_f64 v[125:126], v[84:85], s[12:13], v[139:140]
	v_fma_f64 v[123:124], v[86:87], s[12:13], v[137:138]
	s_wait_alu 0xfffe
	v_fma_f64 v[84:85], v[84:85], s[14:15], v[70:71]
	v_fma_f64 v[86:87], v[86:87], s[14:15], v[66:67]
	;; [unrolled: 1-line block ×9, first 2 shown]
	v_mul_f64_e32 v[94:95], v[107:108], v[175:176]
	v_fma_f64 v[78:79], v[74:75], s[14:15], v[78:79]
	v_fma_f64 v[70:71], v[105:106], v[161:162], -v[149:150]
	v_fma_f64 v[66:67], v[28:29], v[161:162], v[151:152]
	v_fma_f64 v[72:73], v[111:112], v[165:166], -v[153:154]
	;; [unrolled: 2-line block ×4, first 2 shown]
	v_add_f64_e32 v[28:29], v[82:83], v[62:63]
	v_add_f64_e32 v[34:35], v[88:89], v[58:59]
	;; [unrolled: 1-line block ×3, first 2 shown]
	v_fma_f64 v[105:106], v[113:114], s[16:17], v[125:126]
	v_fma_f64 v[90:91], v[80:81], s[16:17], v[123:124]
	;; [unrolled: 1-line block ×13, first 2 shown]
	v_and_b32_e32 v30, 0xffff, v131
	v_and_b32_e32 v31, 0xffff, v187
	v_and_b32_e32 v79, 0xffff, v188
	v_lshlrev_b32_e32 v80, 3, v189
	v_lshlrev_b32_e32 v85, 3, v191
	v_mul_u32_u24_e32 v30, 0x2a8, v30
	v_mul_u32_u24_e32 v31, 0x2a8, v31
	;; [unrolled: 1-line block ×3, first 2 shown]
	v_mul_lo_u16 v78, 0x55, v192
	v_lshlrev_b32_e32 v79, 3, v193
	v_add3_u32 v80, 0, v30, v80
	v_lshlrev_b32_e32 v30, 3, v190
	v_add3_u32 v81, 0, v81, v85
	s_delay_alu instid0(VALU_DEP_2)
	v_add3_u32 v82, 0, v31, v30
	ds_store_2addr_b64 v80, v[28:29], v[90:91] offset1:17
	ds_store_2addr_b64 v80, v[105:106], v[83:84] offset0:34 offset1:51
	ds_store_b64 v80, v[86:87] offset:544
	ds_store_2addr_b64 v82, v[34:35], v[107:108] offset1:17
	ds_store_2addr_b64 v82, v[111:112], v[92:93] offset0:34 offset1:51
	ds_store_b64 v82, v[109:110] offset:544
	;; [unrolled: 3-line block ×3, first 2 shown]
	s_and_saveexec_b32 s1, s0
	s_cbranch_execz .LBB0_19
; %bb.18:
	v_add_f64_e32 v[30:31], v[72:73], v[74:75]
	v_add_f64_e32 v[28:29], v[70:71], v[76:77]
	v_add_f64_e64 v[83:84], v[66:67], -v[68:69]
	v_add_f64_e32 v[85:86], v[103:104], v[70:71]
	v_add_f64_e64 v[34:35], v[64:65], -v[36:37]
	v_add_f64_e64 v[87:88], v[72:73], -v[70:71]
	;; [unrolled: 1-line block ×5, first 2 shown]
	v_fma_f64 v[30:31], v[30:31], -0.5, v[103:104]
	v_fma_f64 v[28:29], v[28:29], -0.5, v[103:104]
	v_add_f64_e32 v[85:86], v[85:86], v[72:73]
	v_add_f64_e32 v[87:88], v[87:88], v[89:90]
	;; [unrolled: 1-line block ×3, first 2 shown]
	v_fma_f64 v[105:106], v[83:84], s[4:5], v[30:31]
	v_fma_f64 v[103:104], v[34:35], s[4:5], v[28:29]
	v_fma_f64 v[28:29], v[34:35], s[10:11], v[28:29]
	v_fma_f64 v[30:31], v[83:84], s[10:11], v[30:31]
	v_add_f64_e32 v[85:86], v[85:86], v[74:75]
	v_fma_f64 v[93:94], v[34:35], s[12:13], v[105:106]
	v_fma_f64 v[91:92], v[83:84], s[14:15], v[103:104]
	;; [unrolled: 1-line block ×4, first 2 shown]
	v_add_f64_e32 v[34:35], v[85:86], v[76:77]
	v_fma_f64 v[85:86], v[89:90], s[16:17], v[93:94]
	v_fma_f64 v[83:84], v[87:88], s[16:17], v[91:92]
	;; [unrolled: 1-line block ×4, first 2 shown]
	v_and_b32_e32 v87, 0xffff, v78
	s_delay_alu instid0(VALU_DEP_1) | instskip(NEXT) | instid1(VALU_DEP_1)
	v_lshlrev_b32_e32 v87, 3, v87
	v_add3_u32 v87, 0, v79, v87
	ds_store_2addr_b64 v87, v[34:35], v[85:86] offset1:17
	ds_store_2addr_b64 v87, v[28:29], v[83:84] offset0:34 offset1:51
	ds_store_b64 v87, v[30:31] offset:544
.LBB0_19:
	s_wait_alu 0xfffe
	s_or_b32 exec_lo, exec_lo, s1
	v_add_f64_e32 v[28:29], v[20:21], v[14:15]
	v_add_f64_e32 v[30:31], v[38:39], v[2:3]
	;; [unrolled: 1-line block ×7, first 2 shown]
	v_add_f64_e64 v[52:53], v[52:53], -v[62:63]
	v_add_f64_e64 v[54:55], v[54:55], -v[56:57]
	v_add_f64_e32 v[56:57], v[6:7], v[24:25]
	v_add_f64_e32 v[62:63], v[0:1], v[18:19]
	v_add_f64_e64 v[44:45], v[44:45], -v[58:59]
	v_add_f64_e64 v[42:43], v[42:43], -v[50:51]
	;; [unrolled: 1-line block ×6, first 2 shown]
	global_wb scope:SCOPE_SE
	s_wait_dscnt 0x0
	s_barrier_signal -1
	s_barrier_wait -1
	global_inv scope:SCOPE_SE
	v_fma_f64 v[28:29], v[28:29], -0.5, v[4:5]
	v_fma_f64 v[4:5], v[30:31], -0.5, v[4:5]
	;; [unrolled: 1-line block ×3, first 2 shown]
	v_add_f64_e64 v[30:31], v[40:41], -v[46:47]
	v_fma_f64 v[6:7], v[83:84], -0.5, v[6:7]
	v_add_f64_e64 v[40:41], v[48:49], -v[60:61]
	v_fma_f64 v[46:47], v[85:86], -0.5, v[0:1]
	v_fma_f64 v[0:1], v[87:88], -0.5, v[0:1]
	v_add_f64_e64 v[48:49], v[38:39], -v[20:21]
	v_add_f64_e64 v[38:39], v[20:21], -v[38:39]
	;; [unrolled: 1-line block ×4, first 2 shown]
	v_add_f64_e32 v[20:21], v[89:90], v[20:21]
	v_add_f64_e32 v[22:23], v[56:57], v[22:23]
	v_add_f64_e64 v[87:88], v[18:19], -v[26:27]
	v_add_f64_e64 v[18:19], v[26:27], -v[18:19]
	v_add_f64_e32 v[26:27], v[62:63], v[26:27]
	v_add_f64_e64 v[83:84], v[8:9], -v[16:17]
	v_add_f64_e64 v[85:86], v[16:17], -v[8:9]
	v_fma_f64 v[56:57], v[52:53], s[10:11], v[28:29]
	v_fma_f64 v[62:63], v[54:55], s[4:5], v[4:5]
	;; [unrolled: 1-line block ×12, first 2 shown]
	v_add_f64_e32 v[48:49], v[48:49], v[50:51]
	v_add_f64_e32 v[14:15], v[20:21], v[14:15]
	;; [unrolled: 1-line block ×9, first 2 shown]
	v_fma_f64 v[20:21], v[54:55], s[14:15], v[56:57]
	v_fma_f64 v[26:27], v[52:53], s[14:15], v[62:63]
	;; [unrolled: 1-line block ×12, first 2 shown]
	v_add_f64_e32 v[42:43], v[14:15], v[2:3]
	v_add_f64_e32 v[46:47], v[16:17], v[8:9]
	;; [unrolled: 1-line block ×3, first 2 shown]
	v_add_nc_u32_e32 v12, 0x1800, v132
	v_add_nc_u32_e32 v13, 0x2000, v132
	v_fma_f64 v[56:57], v[48:49], s[16:17], v[20:21]
	v_fma_f64 v[60:61], v[38:39], s[16:17], v[26:27]
	;; [unrolled: 1-line block ×11, first 2 shown]
	v_add_nc_u32_e32 v4, 0x400, v132
	v_fma_f64 v[39:40], v[58:59], s[16:17], v[40:41]
	v_lshl_add_u32 v38, v102, 3, 0
	v_add_nc_u32_e32 v5, 0x800, v132
	v_add_nc_u32_e32 v6, 0x1000, v132
	v_add_nc_u32_e32 v7, 0x1400, v132
	ds_load_2addr_b64 v[0:3], v132 offset1:85
	v_add_nc_u32_e32 v41, 0x2400, v132
	ds_load_2addr_b64 v[8:11], v4 offset0:42 offset1:212
	ds_load_b64 v[34:35], v38 offset:2040
	ds_load_2addr_b64 v[20:23], v5 offset0:169 offset1:254
	ds_load_2addr_b64 v[28:31], v6 offset0:83 offset1:168
	;; [unrolled: 1-line block ×6, first 2 shown]
	global_wb scope:SCOPE_SE
	s_wait_dscnt 0x0
	s_barrier_signal -1
	s_barrier_wait -1
	global_inv scope:SCOPE_SE
	ds_store_2addr_b64 v80, v[42:43], v[56:57] offset1:17
	ds_store_2addr_b64 v80, v[60:61], v[62:63] offset0:34 offset1:51
	ds_store_b64 v80, v[48:49] offset:544
	ds_store_2addr_b64 v82, v[46:47], v[83:84] offset1:17
	ds_store_2addr_b64 v82, v[85:86], v[87:88] offset0:34 offset1:51
	ds_store_b64 v82, v[50:51] offset:544
	ds_store_2addr_b64 v81, v[54:55], v[44:45] offset1:17
	ds_store_2addr_b64 v81, v[52:53], v[89:90] offset0:34 offset1:51
	ds_store_b64 v81, v[39:40] offset:544
	s_and_saveexec_b32 s1, s0
	s_cbranch_execz .LBB0_21
; %bb.20:
	v_add_f64_e32 v[39:40], v[64:65], v[36:37]
	v_add_f64_e32 v[41:42], v[66:67], v[68:69]
	;; [unrolled: 1-line block ×3, first 2 shown]
	v_add_f64_e64 v[45:46], v[70:71], -v[76:77]
	v_add_f64_e64 v[47:48], v[72:73], -v[74:75]
	s_mov_b32 s4, 0x134454ff
	s_mov_b32 s5, 0xbfee6f0e
	;; [unrolled: 1-line block ×3, first 2 shown]
	s_wait_alu 0xfffe
	s_mov_b32 s10, s4
	v_add_f64_e64 v[49:50], v[68:69], -v[36:37]
	v_add_f64_e64 v[51:52], v[64:65], -v[66:67]
	;; [unrolled: 1-line block ×3, first 2 shown]
	v_fma_f64 v[39:40], v[39:40], -0.5, v[32:33]
	v_fma_f64 v[32:33], v[41:42], -0.5, v[32:33]
	v_add_f64_e64 v[41:42], v[66:67], -v[64:65]
	v_add_f64_e32 v[43:44], v[43:44], v[64:65]
	s_delay_alu instid0(VALU_DEP_4) | instskip(SKIP_1) | instid1(VALU_DEP_4)
	v_fma_f64 v[55:56], v[45:46], s[4:5], v[39:40]
	s_wait_alu 0xfffe
	v_fma_f64 v[57:58], v[47:48], s[10:11], v[32:33]
	v_fma_f64 v[32:33], v[47:48], s[4:5], v[32:33]
	;; [unrolled: 1-line block ×3, first 2 shown]
	s_mov_b32 s4, 0x4755a5e
	s_mov_b32 s5, 0xbfe2cf23
	;; [unrolled: 1-line block ×3, first 2 shown]
	s_wait_alu 0xfffe
	s_mov_b32 s10, s4
	v_add_f64_e32 v[41:42], v[41:42], v[49:50]
	v_add_f64_e32 v[36:37], v[43:44], v[36:37]
	;; [unrolled: 1-line block ×3, first 2 shown]
	v_fma_f64 v[43:44], v[47:48], s[4:5], v[55:56]
	v_fma_f64 v[51:52], v[45:46], s[4:5], v[57:58]
	s_wait_alu 0xfffe
	v_fma_f64 v[32:33], v[45:46], s[10:11], v[32:33]
	v_fma_f64 v[39:40], v[47:48], s[10:11], v[39:40]
	s_mov_b32 s4, 0x372fe950
	s_mov_b32 s5, 0x3fd3c6ef
	v_add_f64_e32 v[36:37], v[36:37], v[68:69]
	s_wait_alu 0xfffe
	v_fma_f64 v[43:44], v[41:42], s[4:5], v[43:44]
	v_fma_f64 v[45:46], v[49:50], s[4:5], v[51:52]
	v_fma_f64 v[32:33], v[49:50], s[4:5], v[32:33]
	v_fma_f64 v[39:40], v[41:42], s[4:5], v[39:40]
	v_and_b32_e32 v41, 0xffff, v78
	s_delay_alu instid0(VALU_DEP_1) | instskip(NEXT) | instid1(VALU_DEP_1)
	v_lshlrev_b32_e32 v41, 3, v41
	v_add3_u32 v41, 0, v79, v41
	ds_store_2addr_b64 v41, v[36:37], v[43:44] offset1:17
	ds_store_2addr_b64 v41, v[45:46], v[32:33] offset0:34 offset1:51
	ds_store_b64 v41, v[39:40] offset:544
.LBB0_21:
	s_wait_alu 0xfffe
	s_or_b32 exec_lo, exec_lo, s1
	global_wb scope:SCOPE_SE
	s_wait_dscnt 0x0
	s_barrier_signal -1
	s_barrier_wait -1
	global_inv scope:SCOPE_SE
	s_and_saveexec_b32 s0, vcc_lo
	s_cbranch_execz .LBB0_23
; %bb.22:
	v_dual_mov_b32 v33, 0 :: v_dual_lshlrev_b32 v32, 4, v102
	v_add_nc_u32_e32 v47, 0x1000, v132
	s_mov_b32 s4, 0x6ed5f1bb
	s_mov_b32 s5, 0xbfe348c8
	;; [unrolled: 1-line block ×3, first 2 shown]
	v_lshlrev_b64_e32 v[32:33], 4, v[32:33]
	s_mov_b32 s0, 0xc61f0d01
	s_mov_b32 s16, 0x2b2883cd
	;; [unrolled: 1-line block ×5, first 2 shown]
	v_add_co_u32 v32, vcc_lo, s8, v32
	s_wait_alu 0xfffd
	v_add_co_ci_u32_e32 v33, vcc_lo, s9, v33, vcc_lo
	s_mov_b32 s8, 0x910ea3b9
	s_mov_b32 s13, 0x3fb79ee6
	s_clause 0x1
	global_load_b128 v[39:42], v[32:33], off offset:1200
	global_load_b128 v[43:46], v[32:33], off offset:1184
	ds_load_2addr_b64 v[47:50], v47 offset0:83 offset1:168
	s_mov_b32 s1, 0xbfd183b1
	s_mov_b32 s17, 0x3fdc86fa
	;; [unrolled: 1-line block ×7, first 2 shown]
	s_wait_alu 0xfffe
	s_mov_b32 s40, s28
	s_mov_b32 s14, 0xeb564b22
	;; [unrolled: 1-line block ×22, first 2 shown]
	s_wait_alu 0xfffe
	s_mov_b32 s42, s14
	s_mov_b32 s34, s30
	;; [unrolled: 1-line block ×7, first 2 shown]
	s_wait_loadcnt 0x1
	v_mul_f64_e32 v[36:37], v[30:31], v[41:42]
	s_wait_dscnt 0x0
	s_delay_alu instid0(VALU_DEP_1) | instskip(SKIP_1) | instid1(VALU_DEP_1)
	v_fma_f64 v[76:77], v[49:50], v[39:40], v[36:37]
	v_mul_f64_e32 v[36:37], v[49:50], v[41:42]
	v_fma_f64 v[74:75], v[30:31], v[39:40], -v[36:37]
	s_wait_loadcnt 0x0
	v_mul_f64_e32 v[30:31], v[28:29], v[45:46]
	s_delay_alu instid0(VALU_DEP_1) | instskip(SKIP_1) | instid1(VALU_DEP_1)
	v_fma_f64 v[88:89], v[47:48], v[43:44], v[30:31]
	v_mul_f64_e32 v[30:31], v[47:48], v[45:46]
	v_fma_f64 v[80:81], v[28:29], v[43:44], -v[30:31]
	s_clause 0x1
	global_load_b128 v[28:31], v[32:33], off offset:1216
	global_load_b128 v[39:42], v[32:33], off offset:1232
	v_add_nc_u32_e32 v43, 0x1400, v132
	ds_load_2addr_b64 v[43:46], v43 offset0:125 offset1:210
	s_wait_loadcnt 0x1
	v_mul_f64_e32 v[36:37], v[24:25], v[30:31]
	s_wait_dscnt 0x0
	v_mul_f64_e32 v[30:31], v[43:44], v[30:31]
	s_delay_alu instid0(VALU_DEP_2) | instskip(NEXT) | instid1(VALU_DEP_2)
	v_fma_f64 v[84:85], v[43:44], v[28:29], v[36:37]
	v_fma_f64 v[82:83], v[24:25], v[28:29], -v[30:31]
	s_wait_loadcnt 0x0
	v_mul_f64_e32 v[24:25], v[26:27], v[41:42]
	s_delay_alu instid0(VALU_DEP_3) | instskip(SKIP_1) | instid1(VALU_DEP_3)
	v_add_f64_e32 v[190:191], v[76:77], v[84:85]
	v_add_f64_e64 v[192:193], v[76:77], -v[84:85]
	v_fma_f64 v[86:87], v[45:46], v[39:40], v[24:25]
	v_mul_f64_e32 v[24:25], v[45:46], v[41:42]
	v_add_f64_e64 v[160:161], v[74:75], -v[82:83]
	v_add_f64_e32 v[162:163], v[74:75], v[82:83]
	v_mul_f64_e32 v[194:195], s[12:13], v[190:191]
	s_wait_alu 0xfffe
	v_mul_f64_e32 v[196:197], s[42:43], v[192:193]
	v_add_f64_e32 v[186:187], v[88:89], v[86:87]
	v_fma_f64 v[68:69], v[26:27], v[39:40], -v[24:25]
	s_clause 0x1
	global_load_b128 v[24:27], v[32:33], off offset:1168
	global_load_b128 v[28:31], v[32:33], off offset:1152
	v_add_nc_u32_e32 v39, 0x800, v132
	v_add_f64_e64 v[188:189], v[88:89], -v[86:87]
	v_mul_f64_e32 v[198:199], s[0:1], v[190:191]
	v_mul_f64_e32 v[200:201], s[34:35], v[192:193]
	;; [unrolled: 1-line block ×3, first 2 shown]
	ds_load_2addr_b64 v[39:42], v39 offset0:169 offset1:254
	v_mul_f64_e32 v[204:205], s[48:49], v[192:193]
	v_mul_f64_e32 v[206:207], s[4:5], v[190:191]
	v_mul_f64_e32 v[208:209], s[40:41], v[192:193]
	v_mul_f64_e32 v[212:213], s[50:51], v[192:193]
	v_mul_f64_e32 v[210:211], s[20:21], v[190:191]
	v_mul_f64_e32 v[216:217], s[44:45], v[192:193]
	v_mul_f64_e32 v[214:215], s[8:9], v[190:191]
	v_mul_f64_e32 v[218:219], s[24:25], v[190:191]
	v_mul_f64_e32 v[220:221], s[52:53], v[192:193]
	v_mul_f64_e32 v[190:191], s[10:11], v[190:191]
	v_mul_f64_e32 v[192:193], s[46:47], v[192:193]
	v_add_f64_e64 v[154:155], v[80:81], -v[68:69]
	v_add_f64_e32 v[156:157], v[80:81], v[68:69]
	s_wait_loadcnt 0x1
	v_mul_f64_e32 v[36:37], v[22:23], v[26:27]
	s_wait_dscnt 0x0
	v_mul_f64_e32 v[26:27], v[41:42], v[26:27]
	s_delay_alu instid0(VALU_DEP_2) | instskip(NEXT) | instid1(VALU_DEP_2)
	v_fma_f64 v[92:93], v[41:42], v[24:25], v[36:37]
	v_fma_f64 v[94:95], v[22:23], v[24:25], -v[26:27]
	s_wait_loadcnt 0x0
	v_mul_f64_e32 v[22:23], v[20:21], v[30:31]
	s_delay_alu instid0(VALU_DEP_1) | instskip(SKIP_1) | instid1(VALU_DEP_1)
	v_fma_f64 v[106:107], v[39:40], v[28:29], v[22:23]
	v_mul_f64_e32 v[22:23], v[39:40], v[30:31]
	v_fma_f64 v[108:109], v[20:21], v[28:29], -v[22:23]
	s_clause 0x1
	global_load_b128 v[20:23], v[32:33], off offset:1248
	global_load_b128 v[24:27], v[32:33], off offset:1264
	v_add_nc_u32_e32 v28, 0x1800, v132
	ds_load_2addr_b64 v[28:31], v28 offset0:167 offset1:252
	s_wait_loadcnt 0x1
	v_mul_f64_e32 v[36:37], v[16:17], v[22:23]
	s_wait_dscnt 0x0
	v_mul_f64_e32 v[22:23], v[28:29], v[22:23]
	s_delay_alu instid0(VALU_DEP_2) | instskip(NEXT) | instid1(VALU_DEP_2)
	v_fma_f64 v[78:79], v[28:29], v[20:21], v[36:37]
	v_fma_f64 v[70:71], v[16:17], v[20:21], -v[22:23]
	s_wait_loadcnt 0x0
	v_mul_f64_e32 v[16:17], v[18:19], v[26:27]
	s_delay_alu instid0(VALU_DEP_3) | instskip(NEXT) | instid1(VALU_DEP_3)
	v_add_f64_e32 v[182:183], v[92:93], v[78:79]
	v_add_f64_e64 v[150:151], v[94:95], -v[70:71]
	s_delay_alu instid0(VALU_DEP_3) | instskip(SKIP_3) | instid1(VALU_DEP_4)
	v_fma_f64 v[72:73], v[30:31], v[24:25], v[16:17]
	v_mul_f64_e32 v[16:17], v[30:31], v[26:27]
	v_add_f64_e64 v[184:185], v[92:93], -v[78:79]
	v_add_f64_e32 v[152:153], v[94:95], v[70:71]
	v_add_f64_e32 v[178:179], v[106:107], v[72:73]
	s_delay_alu instid0(VALU_DEP_4)
	v_fma_f64 v[66:67], v[18:19], v[24:25], -v[16:17]
	s_clause 0x1
	global_load_b128 v[16:19], v[32:33], off offset:1280
	global_load_b128 v[20:23], v[32:33], off offset:1296
	v_add_nc_u32_e32 v24, 0x2000, v132
	v_add_f64_e64 v[180:181], v[106:107], -v[72:73]
	ds_load_2addr_b64 v[24:27], v24 offset0:81 offset1:166
	v_add_f64_e64 v[146:147], v[108:109], -v[66:67]
	v_add_f64_e32 v[148:149], v[108:109], v[66:67]
	s_wait_loadcnt 0x1
	v_mul_f64_e32 v[28:29], v[12:13], v[18:19]
	s_wait_dscnt 0x0
	v_mul_f64_e32 v[18:19], v[24:25], v[18:19]
	s_delay_alu instid0(VALU_DEP_2) | instskip(NEXT) | instid1(VALU_DEP_2)
	v_fma_f64 v[110:111], v[24:25], v[16:17], v[28:29]
	v_fma_f64 v[102:103], v[12:13], v[16:17], -v[18:19]
	s_wait_loadcnt 0x0
	v_mul_f64_e32 v[12:13], v[14:15], v[22:23]
	s_delay_alu instid0(VALU_DEP_1) | instskip(SKIP_2) | instid1(VALU_DEP_2)
	v_fma_f64 v[104:105], v[26:27], v[20:21], v[12:13]
	v_mul_f64_e32 v[12:13], v[26:27], v[22:23]
	v_add_nc_u32_e32 v26, 0x2400, v132
	v_fma_f64 v[90:91], v[14:15], v[20:21], -v[12:13]
	s_clause 0x1
	global_load_b128 v[12:15], v[32:33], off offset:1136
	global_load_b128 v[16:19], v[32:33], off offset:1120
	v_add_nc_u32_e32 v20, 0x400, v132
	ds_load_2addr_b64 v[20:23], v20 offset0:42 offset1:212
	s_wait_loadcnt 0x1
	v_mul_f64_e32 v[24:25], v[10:11], v[14:15]
	s_wait_dscnt 0x0
	v_mul_f64_e32 v[14:15], v[22:23], v[14:15]
	s_delay_alu instid0(VALU_DEP_2) | instskip(NEXT) | instid1(VALU_DEP_2)
	v_fma_f64 v[120:121], v[22:23], v[12:13], v[24:25]
	v_fma_f64 v[122:123], v[10:11], v[12:13], -v[14:15]
	s_clause 0x1
	global_load_b128 v[10:13], v[32:33], off offset:1104
	global_load_b128 v[22:25], v[32:33], off offset:1088
	v_add_f64_e32 v[174:175], v[120:121], v[110:111]
	v_add_f64_e64 v[142:143], v[122:123], -v[102:103]
	v_add_f64_e64 v[176:177], v[120:121], -v[110:111]
	v_add_f64_e32 v[144:145], v[122:123], v[102:103]
	s_wait_loadcnt 0x1
	v_mul_f64_e32 v[14:15], v[8:9], v[12:13]
	v_mul_f64_e32 v[12:13], v[20:21], v[12:13]
	s_delay_alu instid0(VALU_DEP_2) | instskip(NEXT) | instid1(VALU_DEP_2)
	v_fma_f64 v[130:131], v[20:21], v[10:11], v[14:15]
	v_fma_f64 v[126:127], v[8:9], v[10:11], -v[12:13]
	s_clause 0x1
	global_load_b128 v[8:11], v[32:33], off offset:1312
	global_load_b128 v[12:15], v[32:33], off offset:1328
	ds_load_2addr_b64 v[26:29], v26 offset0:123 offset1:208
	s_wait_loadcnt 0x1
	v_mul_f64_e32 v[20:21], v[4:5], v[10:11]
	s_wait_dscnt 0x0
	v_mul_f64_e32 v[10:11], v[26:27], v[10:11]
	s_delay_alu instid0(VALU_DEP_2) | instskip(NEXT) | instid1(VALU_DEP_2)
	v_fma_f64 v[118:119], v[26:27], v[8:9], v[20:21]
	v_fma_f64 v[112:113], v[4:5], v[8:9], -v[10:11]
	s_wait_loadcnt 0x0
	v_mul_f64_e32 v[4:5], v[6:7], v[14:15]
	v_mul_f64_e32 v[8:9], v[2:3], v[24:25]
	s_delay_alu instid0(VALU_DEP_4) | instskip(NEXT) | instid1(VALU_DEP_4)
	v_add_f64_e32 v[164:165], v[130:131], v[118:119]
	v_add_f64_e64 v[134:135], v[126:127], -v[112:113]
	s_delay_alu instid0(VALU_DEP_4) | instskip(SKIP_3) | instid1(VALU_DEP_3)
	v_fma_f64 v[114:115], v[28:29], v[12:13], v[4:5]
	v_mul_f64_e32 v[4:5], v[28:29], v[14:15]
	v_add_f64_e64 v[170:171], v[130:131], -v[118:119]
	v_add_f64_e32 v[136:137], v[126:127], v[112:113]
	v_fma_f64 v[116:117], v[6:7], v[12:13], -v[4:5]
	v_mul_f64_e32 v[6:7], v[34:35], v[18:19]
	ds_load_b64 v[4:5], v38 offset:2040
	s_wait_dscnt 0x0
	v_fma_f64 v[128:129], v[4:5], v[16:17], v[6:7]
	v_mul_f64_e32 v[4:5], v[4:5], v[18:19]
	s_delay_alu instid0(VALU_DEP_2) | instskip(NEXT) | instid1(VALU_DEP_2)
	v_add_f64_e32 v[168:169], v[128:129], v[104:105]
	v_fma_f64 v[124:125], v[34:35], v[16:17], -v[4:5]
	ds_load_2addr_b64 v[4:7], v132 offset1:85
	v_add_f64_e64 v[172:173], v[128:129], -v[104:105]
	s_wait_dscnt 0x0
	v_fma_f64 v[8:9], v[6:7], v[22:23], v[8:9]
	v_mul_f64_e32 v[6:7], v[6:7], v[24:25]
	v_add_f64_e64 v[138:139], v[124:125], -v[90:91]
	v_add_f64_e32 v[140:141], v[124:125], v[90:91]
	s_delay_alu instid0(VALU_DEP_4) | instskip(NEXT) | instid1(VALU_DEP_4)
	v_add_f64_e64 v[166:167], v[8:9], -v[114:115]
	v_fma_f64 v[62:63], v[2:3], v[22:23], -v[6:7]
	v_add_f64_e32 v[6:7], v[8:9], v[114:115]
	v_add_f64_e32 v[132:133], v[4:5], v[8:9]
	s_delay_alu instid0(VALU_DEP_4) | instskip(NEXT) | instid1(VALU_DEP_4)
	v_mul_f64_e32 v[8:9], s[46:47], v[166:167]
	v_add_f64_e64 v[22:23], v[62:63], -v[116:117]
	s_delay_alu instid0(VALU_DEP_4)
	v_mul_f64_e32 v[12:13], s[4:5], v[6:7]
	v_mul_f64_e32 v[2:3], s[10:11], v[6:7]
	v_mul_f64_e32 v[10:11], s[8:9], v[6:7]
	v_mul_f64_e32 v[14:15], s[0:1], v[6:7]
	v_mul_f64_e32 v[16:17], s[12:13], v[6:7]
	v_mul_f64_e32 v[18:19], s[16:17], v[6:7]
	v_mul_f64_e32 v[20:21], s[20:21], v[6:7]
	v_mul_f64_e32 v[6:7], s[24:25], v[6:7]
	v_add_f64_e32 v[158:159], v[62:63], v[116:117]
	v_add_f64_e32 v[130:131], v[130:131], v[132:133]
	v_fma_f64 v[32:33], v[22:23], s[28:29], v[12:13]
	v_fma_f64 v[12:13], v[22:23], s[40:41], v[12:13]
	;; [unrolled: 1-line block ×16, first 2 shown]
	v_add_f64_e32 v[18:19], v[4:5], v[32:33]
	v_add_f64_e32 v[22:23], v[4:5], v[12:13]
	v_mul_f64_e32 v[12:13], s[24:25], v[164:165]
	v_add_f64_e32 v[2:3], v[4:5], v[24:25]
	v_add_f64_e32 v[6:7], v[4:5], v[26:27]
	;; [unrolled: 1-line block ×14, first 2 shown]
	v_mul_f64_e32 v[16:17], s[52:53], v[170:171]
	v_fma_f64 v[4:5], v[134:135], s[38:39], v[12:13]
	v_fma_f64 v[12:13], v[134:135], s[52:53], v[12:13]
	s_delay_alu instid0(VALU_DEP_3) | instskip(NEXT) | instid1(VALU_DEP_3)
	v_fma_f64 v[20:21], v[136:137], s[24:25], v[16:17]
	v_add_f64_e32 v[2:3], v[4:5], v[2:3]
	v_fma_f64 v[4:5], v[158:159], s[10:11], v[8:9]
	v_fma_f64 v[8:9], v[158:159], s[10:11], -v[8:9]
	v_add_f64_e32 v[6:7], v[12:13], v[6:7]
	v_fma_f64 v[12:13], v[136:137], s[24:25], -v[16:17]
	v_fma_f64 v[16:17], v[162:163], s[12:13], -v[196:197]
	v_add_f64_e32 v[4:5], v[0:1], v[4:5]
	v_add_f64_e32 v[8:9], v[0:1], v[8:9]
	s_delay_alu instid0(VALU_DEP_2) | instskip(SKIP_1) | instid1(VALU_DEP_3)
	v_add_f64_e32 v[4:5], v[20:21], v[4:5]
	v_mul_f64_e32 v[20:21], s[8:9], v[168:169]
	v_add_f64_e32 v[8:9], v[12:13], v[8:9]
	s_delay_alu instid0(VALU_DEP_2) | instskip(SKIP_2) | instid1(VALU_DEP_3)
	v_fma_f64 v[24:25], v[138:139], s[26:27], v[20:21]
	v_fma_f64 v[12:13], v[138:139], s[44:45], v[20:21]
	v_mul_f64_e32 v[20:21], s[44:45], v[166:167]
	v_add_f64_e32 v[2:3], v[24:25], v[2:3]
	v_mul_f64_e32 v[24:25], s[44:45], v[172:173]
	s_delay_alu instid0(VALU_DEP_4) | instskip(NEXT) | instid1(VALU_DEP_2)
	v_add_f64_e32 v[6:7], v[12:13], v[6:7]
	v_fma_f64 v[28:29], v[140:141], s[8:9], v[24:25]
	v_fma_f64 v[12:13], v[140:141], s[8:9], -v[24:25]
	v_mul_f64_e32 v[24:25], s[48:49], v[170:171]
	s_delay_alu instid0(VALU_DEP_3) | instskip(SKIP_1) | instid1(VALU_DEP_4)
	v_add_f64_e32 v[4:5], v[28:29], v[4:5]
	v_mul_f64_e32 v[28:29], s[20:21], v[174:175]
	v_add_f64_e32 v[8:9], v[12:13], v[8:9]
	s_delay_alu instid0(VALU_DEP_2) | instskip(SKIP_2) | instid1(VALU_DEP_3)
	v_fma_f64 v[32:33], v[142:143], s[22:23], v[28:29]
	v_fma_f64 v[12:13], v[142:143], s[50:51], v[28:29]
	;; [unrolled: 1-line block ×3, first 2 shown]
	v_add_f64_e32 v[2:3], v[32:33], v[2:3]
	v_mul_f64_e32 v[32:33], s[50:51], v[176:177]
	s_delay_alu instid0(VALU_DEP_4) | instskip(NEXT) | instid1(VALU_DEP_2)
	v_add_f64_e32 v[6:7], v[12:13], v[6:7]
	v_fma_f64 v[36:37], v[144:145], s[20:21], v[32:33]
	v_fma_f64 v[12:13], v[144:145], s[20:21], -v[32:33]
	s_delay_alu instid0(VALU_DEP_2) | instskip(SKIP_1) | instid1(VALU_DEP_3)
	v_add_f64_e32 v[4:5], v[36:37], v[4:5]
	v_mul_f64_e32 v[36:37], s[4:5], v[178:179]
	v_add_f64_e32 v[8:9], v[12:13], v[8:9]
	s_delay_alu instid0(VALU_DEP_2) | instskip(SKIP_1) | instid1(VALU_DEP_2)
	v_fma_f64 v[42:43], v[146:147], s[28:29], v[36:37]
	v_fma_f64 v[12:13], v[146:147], s[40:41], v[36:37]
	v_add_f64_e32 v[2:3], v[42:43], v[2:3]
	v_mul_f64_e32 v[42:43], s[40:41], v[180:181]
	s_delay_alu instid0(VALU_DEP_3) | instskip(NEXT) | instid1(VALU_DEP_2)
	v_add_f64_e32 v[6:7], v[12:13], v[6:7]
	v_fma_f64 v[44:45], v[148:149], s[4:5], v[42:43]
	v_fma_f64 v[12:13], v[148:149], s[4:5], -v[42:43]
	s_delay_alu instid0(VALU_DEP_2) | instskip(SKIP_1) | instid1(VALU_DEP_3)
	v_add_f64_e32 v[4:5], v[44:45], v[4:5]
	v_mul_f64_e32 v[44:45], s[16:17], v[182:183]
	v_add_f64_e32 v[8:9], v[12:13], v[8:9]
	s_delay_alu instid0(VALU_DEP_2) | instskip(SKIP_1) | instid1(VALU_DEP_2)
	v_fma_f64 v[50:51], v[150:151], s[18:19], v[44:45]
	v_fma_f64 v[12:13], v[150:151], s[48:49], v[44:45]
	v_add_f64_e32 v[2:3], v[50:51], v[2:3]
	v_mul_f64_e32 v[50:51], s[48:49], v[184:185]
	s_delay_alu instid0(VALU_DEP_3) | instskip(NEXT) | instid1(VALU_DEP_2)
	;; [unrolled: 13-line block ×3, first 2 shown]
	v_add_f64_e32 v[6:7], v[12:13], v[6:7]
	v_fma_f64 v[12:13], v[156:157], s[0:1], -v[58:59]
	v_fma_f64 v[60:61], v[156:157], s[0:1], v[58:59]
	s_delay_alu instid0(VALU_DEP_2) | instskip(SKIP_1) | instid1(VALU_DEP_3)
	v_add_f64_e32 v[12:13], v[12:13], v[8:9]
	v_fma_f64 v[8:9], v[160:161], s[42:43], v[194:195]
	v_add_f64_e32 v[60:61], v[60:61], v[4:5]
	v_fma_f64 v[4:5], v[160:161], s[14:15], v[194:195]
	s_delay_alu instid0(VALU_DEP_3) | instskip(SKIP_2) | instid1(VALU_DEP_4)
	v_add_f64_e32 v[8:9], v[8:9], v[6:7]
	v_add_f64_e32 v[6:7], v[16:17], v[12:13]
	v_mul_f64_e32 v[16:17], s[16:17], v[164:165]
	v_add_f64_e32 v[4:5], v[4:5], v[2:3]
	v_fma_f64 v[2:3], v[162:163], s[12:13], v[196:197]
	s_delay_alu instid0(VALU_DEP_3) | instskip(SKIP_1) | instid1(VALU_DEP_3)
	v_fma_f64 v[12:13], v[134:135], s[18:19], v[16:17]
	v_fma_f64 v[16:17], v[134:135], s[48:49], v[16:17]
	v_add_f64_e32 v[2:3], v[2:3], v[60:61]
	s_delay_alu instid0(VALU_DEP_3) | instskip(SKIP_1) | instid1(VALU_DEP_4)
	v_add_f64_e32 v[10:11], v[12:13], v[10:11]
	v_fma_f64 v[12:13], v[158:159], s[8:9], v[20:21]
	v_add_f64_e32 v[14:15], v[16:17], v[14:15]
	v_fma_f64 v[16:17], v[158:159], s[8:9], -v[20:21]
	v_fma_f64 v[20:21], v[136:137], s[16:17], -v[24:25]
	;; [unrolled: 1-line block ×3, first 2 shown]
	v_add_f64_e32 v[12:13], v[0:1], v[12:13]
	s_delay_alu instid0(VALU_DEP_4) | instskip(NEXT) | instid1(VALU_DEP_2)
	v_add_f64_e32 v[16:17], v[0:1], v[16:17]
	v_add_f64_e32 v[12:13], v[28:29], v[12:13]
	v_mul_f64_e32 v[28:29], s[12:13], v[168:169]
	s_delay_alu instid0(VALU_DEP_3) | instskip(NEXT) | instid1(VALU_DEP_2)
	v_add_f64_e32 v[16:17], v[20:21], v[16:17]
	v_fma_f64 v[32:33], v[138:139], s[42:43], v[28:29]
	v_fma_f64 v[20:21], v[138:139], s[14:15], v[28:29]
	v_mul_f64_e32 v[28:29], s[40:41], v[166:167]
	s_delay_alu instid0(VALU_DEP_3) | instskip(SKIP_1) | instid1(VALU_DEP_4)
	v_add_f64_e32 v[10:11], v[32:33], v[10:11]
	v_mul_f64_e32 v[32:33], s[14:15], v[172:173]
	v_add_f64_e32 v[14:15], v[20:21], v[14:15]
	s_delay_alu instid0(VALU_DEP_2) | instskip(SKIP_2) | instid1(VALU_DEP_3)
	v_fma_f64 v[36:37], v[140:141], s[12:13], v[32:33]
	v_fma_f64 v[20:21], v[140:141], s[12:13], -v[32:33]
	v_mul_f64_e32 v[32:33], s[30:31], v[170:171]
	v_add_f64_e32 v[12:13], v[36:37], v[12:13]
	v_mul_f64_e32 v[36:37], s[4:5], v[174:175]
	s_delay_alu instid0(VALU_DEP_4) | instskip(NEXT) | instid1(VALU_DEP_2)
	v_add_f64_e32 v[16:17], v[20:21], v[16:17]
	v_fma_f64 v[42:43], v[142:143], s[40:41], v[36:37]
	v_fma_f64 v[20:21], v[142:143], s[28:29], v[36:37]
	;; [unrolled: 1-line block ×3, first 2 shown]
	s_delay_alu instid0(VALU_DEP_3) | instskip(SKIP_1) | instid1(VALU_DEP_4)
	v_add_f64_e32 v[10:11], v[42:43], v[10:11]
	v_mul_f64_e32 v[42:43], s[28:29], v[176:177]
	v_add_f64_e32 v[14:15], v[20:21], v[14:15]
	s_delay_alu instid0(VALU_DEP_2) | instskip(SKIP_1) | instid1(VALU_DEP_2)
	v_fma_f64 v[44:45], v[144:145], s[4:5], v[42:43]
	v_fma_f64 v[20:21], v[144:145], s[4:5], -v[42:43]
	v_add_f64_e32 v[12:13], v[44:45], v[12:13]
	v_mul_f64_e32 v[44:45], s[24:25], v[178:179]
	s_delay_alu instid0(VALU_DEP_3) | instskip(NEXT) | instid1(VALU_DEP_2)
	v_add_f64_e32 v[16:17], v[20:21], v[16:17]
	v_fma_f64 v[50:51], v[146:147], s[52:53], v[44:45]
	v_fma_f64 v[20:21], v[146:147], s[38:39], v[44:45]
	s_delay_alu instid0(VALU_DEP_2) | instskip(SKIP_1) | instid1(VALU_DEP_3)
	v_add_f64_e32 v[10:11], v[50:51], v[10:11]
	v_mul_f64_e32 v[50:51], s[38:39], v[180:181]
	v_add_f64_e32 v[14:15], v[20:21], v[14:15]
	s_delay_alu instid0(VALU_DEP_2) | instskip(SKIP_1) | instid1(VALU_DEP_2)
	v_fma_f64 v[52:53], v[148:149], s[24:25], v[50:51]
	v_fma_f64 v[20:21], v[148:149], s[24:25], -v[50:51]
	v_add_f64_e32 v[12:13], v[52:53], v[12:13]
	v_mul_f64_e32 v[52:53], s[10:11], v[182:183]
	s_delay_alu instid0(VALU_DEP_3) | instskip(NEXT) | instid1(VALU_DEP_2)
	v_add_f64_e32 v[16:17], v[20:21], v[16:17]
	v_fma_f64 v[58:59], v[150:151], s[36:37], v[52:53]
	v_fma_f64 v[20:21], v[150:151], s[46:47], v[52:53]
	s_delay_alu instid0(VALU_DEP_2) | instskip(SKIP_1) | instid1(VALU_DEP_3)
	;; [unrolled: 13-line block ×3, first 2 shown]
	v_add_f64_e32 v[10:11], v[194:195], v[10:11]
	v_mul_f64_e32 v[194:195], s[50:51], v[188:189]
	v_add_f64_e32 v[14:15], v[20:21], v[14:15]
	s_delay_alu instid0(VALU_DEP_2) | instskip(SKIP_1) | instid1(VALU_DEP_2)
	v_fma_f64 v[20:21], v[156:157], s[20:21], -v[194:195]
	v_fma_f64 v[196:197], v[156:157], s[20:21], v[194:195]
	v_add_f64_e32 v[20:21], v[20:21], v[16:17]
	v_fma_f64 v[16:17], v[160:161], s[34:35], v[198:199]
	s_delay_alu instid0(VALU_DEP_3) | instskip(SKIP_1) | instid1(VALU_DEP_3)
	v_add_f64_e32 v[196:197], v[196:197], v[12:13]
	v_fma_f64 v[12:13], v[160:161], s[30:31], v[198:199]
	v_add_f64_e32 v[16:17], v[16:17], v[14:15]
	v_add_f64_e32 v[14:15], v[24:25], v[20:21]
	v_mul_f64_e32 v[24:25], s[0:1], v[164:165]
	s_delay_alu instid0(VALU_DEP_4) | instskip(SKIP_1) | instid1(VALU_DEP_3)
	v_add_f64_e32 v[12:13], v[12:13], v[10:11]
	v_fma_f64 v[10:11], v[162:163], s[0:1], v[200:201]
	v_fma_f64 v[20:21], v[134:135], s[34:35], v[24:25]
	;; [unrolled: 1-line block ×3, first 2 shown]
	s_delay_alu instid0(VALU_DEP_3) | instskip(NEXT) | instid1(VALU_DEP_3)
	v_add_f64_e32 v[10:11], v[10:11], v[196:197]
	v_add_f64_e32 v[18:19], v[20:21], v[18:19]
	v_fma_f64 v[20:21], v[158:159], s[4:5], v[28:29]
	s_delay_alu instid0(VALU_DEP_4) | instskip(SKIP_4) | instid1(VALU_DEP_4)
	v_add_f64_e32 v[22:23], v[24:25], v[22:23]
	v_fma_f64 v[24:25], v[158:159], s[4:5], -v[28:29]
	v_fma_f64 v[28:29], v[136:137], s[0:1], -v[32:33]
	;; [unrolled: 1-line block ×3, first 2 shown]
	v_add_f64_e32 v[20:21], v[0:1], v[20:21]
	v_add_f64_e32 v[24:25], v[0:1], v[24:25]
	s_delay_alu instid0(VALU_DEP_2) | instskip(SKIP_1) | instid1(VALU_DEP_3)
	v_add_f64_e32 v[20:21], v[36:37], v[20:21]
	v_mul_f64_e32 v[36:37], s[24:25], v[168:169]
	v_add_f64_e32 v[24:25], v[28:29], v[24:25]
	s_delay_alu instid0(VALU_DEP_2) | instskip(SKIP_2) | instid1(VALU_DEP_3)
	v_fma_f64 v[42:43], v[138:139], s[52:53], v[36:37]
	v_fma_f64 v[28:29], v[138:139], s[38:39], v[36:37]
	v_mul_f64_e32 v[36:37], s[34:35], v[166:167]
	v_add_f64_e32 v[18:19], v[42:43], v[18:19]
	v_mul_f64_e32 v[42:43], s[38:39], v[172:173]
	s_delay_alu instid0(VALU_DEP_4) | instskip(NEXT) | instid1(VALU_DEP_2)
	v_add_f64_e32 v[22:23], v[28:29], v[22:23]
	v_fma_f64 v[44:45], v[140:141], s[24:25], v[42:43]
	v_fma_f64 v[28:29], v[140:141], s[24:25], -v[42:43]
	v_mul_f64_e32 v[42:43], s[26:27], v[170:171]
	s_delay_alu instid0(VALU_DEP_3) | instskip(SKIP_1) | instid1(VALU_DEP_4)
	v_add_f64_e32 v[20:21], v[44:45], v[20:21]
	v_mul_f64_e32 v[44:45], s[8:9], v[174:175]
	v_add_f64_e32 v[24:25], v[28:29], v[24:25]
	s_delay_alu instid0(VALU_DEP_2) | instskip(SKIP_2) | instid1(VALU_DEP_3)
	v_fma_f64 v[50:51], v[142:143], s[26:27], v[44:45]
	v_fma_f64 v[28:29], v[142:143], s[44:45], v[44:45]
	;; [unrolled: 1-line block ×3, first 2 shown]
	v_add_f64_e32 v[18:19], v[50:51], v[18:19]
	v_mul_f64_e32 v[50:51], s[44:45], v[176:177]
	s_delay_alu instid0(VALU_DEP_4) | instskip(NEXT) | instid1(VALU_DEP_2)
	v_add_f64_e32 v[22:23], v[28:29], v[22:23]
	v_fma_f64 v[52:53], v[144:145], s[8:9], v[50:51]
	v_fma_f64 v[28:29], v[144:145], s[8:9], -v[50:51]
	s_delay_alu instid0(VALU_DEP_2) | instskip(SKIP_1) | instid1(VALU_DEP_3)
	v_add_f64_e32 v[20:21], v[52:53], v[20:21]
	v_mul_f64_e32 v[52:53], s[12:13], v[178:179]
	v_add_f64_e32 v[24:25], v[28:29], v[24:25]
	s_delay_alu instid0(VALU_DEP_2) | instskip(SKIP_1) | instid1(VALU_DEP_2)
	v_fma_f64 v[58:59], v[146:147], s[14:15], v[52:53]
	v_fma_f64 v[28:29], v[146:147], s[42:43], v[52:53]
	v_add_f64_e32 v[18:19], v[58:59], v[18:19]
	v_mul_f64_e32 v[58:59], s[42:43], v[180:181]
	s_delay_alu instid0(VALU_DEP_3) | instskip(NEXT) | instid1(VALU_DEP_2)
	v_add_f64_e32 v[22:23], v[28:29], v[22:23]
	v_fma_f64 v[60:61], v[148:149], s[12:13], v[58:59]
	v_fma_f64 v[28:29], v[148:149], s[12:13], -v[58:59]
	s_delay_alu instid0(VALU_DEP_2) | instskip(SKIP_1) | instid1(VALU_DEP_3)
	v_add_f64_e32 v[20:21], v[60:61], v[20:21]
	v_mul_f64_e32 v[60:61], s[20:21], v[182:183]
	v_add_f64_e32 v[24:25], v[28:29], v[24:25]
	s_delay_alu instid0(VALU_DEP_2) | instskip(SKIP_1) | instid1(VALU_DEP_2)
	v_fma_f64 v[194:195], v[150:151], s[50:51], v[60:61]
	v_fma_f64 v[28:29], v[150:151], s[22:23], v[60:61]
	v_add_f64_e32 v[18:19], v[194:195], v[18:19]
	v_mul_f64_e32 v[194:195], s[22:23], v[184:185]
	s_delay_alu instid0(VALU_DEP_3) | instskip(NEXT) | instid1(VALU_DEP_2)
	;; [unrolled: 13-line block ×3, first 2 shown]
	v_add_f64_e32 v[22:23], v[28:29], v[22:23]
	v_fma_f64 v[28:29], v[156:157], s[10:11], -v[198:199]
	v_fma_f64 v[200:201], v[156:157], s[10:11], v[198:199]
	s_delay_alu instid0(VALU_DEP_2) | instskip(SKIP_1) | instid1(VALU_DEP_3)
	v_add_f64_e32 v[28:29], v[28:29], v[24:25]
	v_fma_f64 v[24:25], v[160:161], s[48:49], v[202:203]
	v_add_f64_e32 v[200:201], v[200:201], v[20:21]
	v_fma_f64 v[20:21], v[160:161], s[18:19], v[202:203]
	s_delay_alu instid0(VALU_DEP_3) | instskip(SKIP_2) | instid1(VALU_DEP_4)
	v_add_f64_e32 v[24:25], v[24:25], v[22:23]
	v_add_f64_e32 v[22:23], v[32:33], v[28:29]
	v_mul_f64_e32 v[32:33], s[8:9], v[164:165]
	v_add_f64_e32 v[20:21], v[20:21], v[18:19]
	v_fma_f64 v[18:19], v[162:163], s[16:17], v[204:205]
	s_delay_alu instid0(VALU_DEP_3) | instskip(SKIP_1) | instid1(VALU_DEP_3)
	v_fma_f64 v[28:29], v[134:135], s[44:45], v[32:33]
	v_fma_f64 v[32:33], v[134:135], s[26:27], v[32:33]
	v_add_f64_e32 v[18:19], v[18:19], v[200:201]
	s_delay_alu instid0(VALU_DEP_3) | instskip(SKIP_1) | instid1(VALU_DEP_4)
	v_add_f64_e32 v[26:27], v[28:29], v[26:27]
	v_fma_f64 v[28:29], v[158:159], s[0:1], v[36:37]
	v_add_f64_e32 v[30:31], v[32:33], v[30:31]
	v_fma_f64 v[32:33], v[158:159], s[0:1], -v[36:37]
	v_fma_f64 v[36:37], v[136:137], s[8:9], -v[42:43]
	;; [unrolled: 1-line block ×3, first 2 shown]
	v_add_f64_e32 v[28:29], v[0:1], v[28:29]
	s_delay_alu instid0(VALU_DEP_4) | instskip(NEXT) | instid1(VALU_DEP_2)
	v_add_f64_e32 v[32:33], v[0:1], v[32:33]
	v_add_f64_e32 v[28:29], v[44:45], v[28:29]
	v_mul_f64_e32 v[44:45], s[20:21], v[168:169]
	s_delay_alu instid0(VALU_DEP_3) | instskip(NEXT) | instid1(VALU_DEP_2)
	v_add_f64_e32 v[32:33], v[36:37], v[32:33]
	v_fma_f64 v[50:51], v[138:139], s[22:23], v[44:45]
	v_fma_f64 v[36:37], v[138:139], s[50:51], v[44:45]
	v_mul_f64_e32 v[44:45], s[14:15], v[166:167]
	s_delay_alu instid0(VALU_DEP_3) | instskip(SKIP_1) | instid1(VALU_DEP_4)
	v_add_f64_e32 v[26:27], v[50:51], v[26:27]
	v_mul_f64_e32 v[50:51], s[50:51], v[172:173]
	v_add_f64_e32 v[30:31], v[36:37], v[30:31]
	s_delay_alu instid0(VALU_DEP_2) | instskip(SKIP_2) | instid1(VALU_DEP_3)
	v_fma_f64 v[52:53], v[140:141], s[20:21], v[50:51]
	v_fma_f64 v[36:37], v[140:141], s[20:21], -v[50:51]
	v_mul_f64_e32 v[50:51], s[46:47], v[170:171]
	v_add_f64_e32 v[28:29], v[52:53], v[28:29]
	v_mul_f64_e32 v[52:53], s[16:17], v[174:175]
	s_delay_alu instid0(VALU_DEP_4) | instskip(NEXT) | instid1(VALU_DEP_2)
	v_add_f64_e32 v[32:33], v[36:37], v[32:33]
	v_fma_f64 v[58:59], v[142:143], s[48:49], v[52:53]
	v_fma_f64 v[36:37], v[142:143], s[18:19], v[52:53]
	;; [unrolled: 1-line block ×3, first 2 shown]
	s_delay_alu instid0(VALU_DEP_3) | instskip(SKIP_1) | instid1(VALU_DEP_4)
	v_add_f64_e32 v[26:27], v[58:59], v[26:27]
	v_mul_f64_e32 v[58:59], s[18:19], v[176:177]
	v_add_f64_e32 v[30:31], v[36:37], v[30:31]
	s_delay_alu instid0(VALU_DEP_2) | instskip(SKIP_1) | instid1(VALU_DEP_2)
	v_fma_f64 v[60:61], v[144:145], s[16:17], v[58:59]
	v_fma_f64 v[36:37], v[144:145], s[16:17], -v[58:59]
	v_add_f64_e32 v[28:29], v[60:61], v[28:29]
	v_mul_f64_e32 v[60:61], s[10:11], v[178:179]
	s_delay_alu instid0(VALU_DEP_3) | instskip(NEXT) | instid1(VALU_DEP_2)
	v_add_f64_e32 v[32:33], v[36:37], v[32:33]
	v_fma_f64 v[194:195], v[146:147], s[36:37], v[60:61]
	v_fma_f64 v[36:37], v[146:147], s[46:47], v[60:61]
	s_delay_alu instid0(VALU_DEP_2) | instskip(SKIP_1) | instid1(VALU_DEP_3)
	v_add_f64_e32 v[26:27], v[194:195], v[26:27]
	v_mul_f64_e32 v[194:195], s[46:47], v[180:181]
	v_add_f64_e32 v[30:31], v[36:37], v[30:31]
	s_delay_alu instid0(VALU_DEP_2) | instskip(SKIP_1) | instid1(VALU_DEP_2)
	v_fma_f64 v[196:197], v[148:149], s[10:11], v[194:195]
	v_fma_f64 v[36:37], v[148:149], s[10:11], -v[194:195]
	v_add_f64_e32 v[28:29], v[196:197], v[28:29]
	v_mul_f64_e32 v[196:197], s[12:13], v[182:183]
	s_delay_alu instid0(VALU_DEP_3) | instskip(NEXT) | instid1(VALU_DEP_2)
	v_add_f64_e32 v[32:33], v[36:37], v[32:33]
	v_fma_f64 v[198:199], v[150:151], s[14:15], v[196:197]
	v_fma_f64 v[36:37], v[150:151], s[42:43], v[196:197]
	s_delay_alu instid0(VALU_DEP_2) | instskip(SKIP_1) | instid1(VALU_DEP_3)
	v_add_f64_e32 v[26:27], v[198:199], v[26:27]
	v_mul_f64_e32 v[198:199], s[42:43], v[184:185]
	v_add_f64_e32 v[30:31], v[36:37], v[30:31]
	s_delay_alu instid0(VALU_DEP_2) | instskip(SKIP_1) | instid1(VALU_DEP_2)
	v_fma_f64 v[200:201], v[152:153], s[12:13], v[198:199]
	v_fma_f64 v[36:37], v[152:153], s[12:13], -v[198:199]
	v_add_f64_e32 v[28:29], v[200:201], v[28:29]
	v_mul_f64_e32 v[200:201], s[24:25], v[186:187]
	s_delay_alu instid0(VALU_DEP_3) | instskip(NEXT) | instid1(VALU_DEP_2)
	v_add_f64_e32 v[32:33], v[36:37], v[32:33]
	v_fma_f64 v[202:203], v[154:155], s[52:53], v[200:201]
	v_fma_f64 v[36:37], v[154:155], s[38:39], v[200:201]
	s_delay_alu instid0(VALU_DEP_2) | instskip(SKIP_1) | instid1(VALU_DEP_3)
	v_add_f64_e32 v[26:27], v[202:203], v[26:27]
	v_mul_f64_e32 v[202:203], s[38:39], v[188:189]
	v_add_f64_e32 v[30:31], v[36:37], v[30:31]
	s_delay_alu instid0(VALU_DEP_2) | instskip(SKIP_1) | instid1(VALU_DEP_2)
	v_fma_f64 v[36:37], v[156:157], s[24:25], -v[202:203]
	v_fma_f64 v[204:205], v[156:157], s[24:25], v[202:203]
	v_add_f64_e32 v[36:37], v[36:37], v[32:33]
	v_fma_f64 v[32:33], v[160:161], s[40:41], v[206:207]
	s_delay_alu instid0(VALU_DEP_3) | instskip(SKIP_1) | instid1(VALU_DEP_3)
	v_add_f64_e32 v[204:205], v[204:205], v[28:29]
	v_fma_f64 v[28:29], v[160:161], s[28:29], v[206:207]
	v_add_f64_e32 v[32:33], v[32:33], v[30:31]
	v_add_f64_e32 v[30:31], v[42:43], v[36:37]
	v_mul_f64_e32 v[42:43], s[10:11], v[164:165]
	s_delay_alu instid0(VALU_DEP_4) | instskip(SKIP_1) | instid1(VALU_DEP_3)
	v_add_f64_e32 v[28:29], v[28:29], v[26:27]
	v_fma_f64 v[26:27], v[162:163], s[4:5], v[208:209]
	v_fma_f64 v[36:37], v[134:135], s[36:37], v[42:43]
	;; [unrolled: 1-line block ×3, first 2 shown]
	s_delay_alu instid0(VALU_DEP_3) | instskip(NEXT) | instid1(VALU_DEP_3)
	v_add_f64_e32 v[26:27], v[26:27], v[204:205]
	v_add_f64_e32 v[34:35], v[36:37], v[34:35]
	v_fma_f64 v[36:37], v[158:159], s[12:13], v[44:45]
	s_delay_alu instid0(VALU_DEP_4) | instskip(SKIP_4) | instid1(VALU_DEP_4)
	v_add_f64_e32 v[40:41], v[42:43], v[40:41]
	v_fma_f64 v[42:43], v[158:159], s[12:13], -v[44:45]
	v_fma_f64 v[44:45], v[136:137], s[10:11], -v[50:51]
	;; [unrolled: 1-line block ×3, first 2 shown]
	v_add_f64_e32 v[36:37], v[0:1], v[36:37]
	v_add_f64_e32 v[42:43], v[0:1], v[42:43]
	s_delay_alu instid0(VALU_DEP_2) | instskip(SKIP_1) | instid1(VALU_DEP_3)
	v_add_f64_e32 v[36:37], v[52:53], v[36:37]
	v_mul_f64_e32 v[52:53], s[0:1], v[168:169]
	v_add_f64_e32 v[42:43], v[44:45], v[42:43]
	s_delay_alu instid0(VALU_DEP_2) | instskip(SKIP_2) | instid1(VALU_DEP_3)
	v_fma_f64 v[58:59], v[138:139], s[34:35], v[52:53]
	v_fma_f64 v[44:45], v[138:139], s[30:31], v[52:53]
	v_mul_f64_e32 v[52:53], s[18:19], v[166:167]
	v_add_f64_e32 v[34:35], v[58:59], v[34:35]
	v_mul_f64_e32 v[58:59], s[30:31], v[172:173]
	s_delay_alu instid0(VALU_DEP_4) | instskip(NEXT) | instid1(VALU_DEP_2)
	v_add_f64_e32 v[40:41], v[44:45], v[40:41]
	v_fma_f64 v[60:61], v[140:141], s[0:1], v[58:59]
	v_fma_f64 v[44:45], v[140:141], s[0:1], -v[58:59]
	v_mul_f64_e32 v[58:59], s[40:41], v[170:171]
	s_delay_alu instid0(VALU_DEP_3) | instskip(SKIP_1) | instid1(VALU_DEP_4)
	v_add_f64_e32 v[36:37], v[60:61], v[36:37]
	v_mul_f64_e32 v[60:61], s[24:25], v[174:175]
	v_add_f64_e32 v[42:43], v[44:45], v[42:43]
	s_delay_alu instid0(VALU_DEP_2) | instskip(SKIP_2) | instid1(VALU_DEP_3)
	v_fma_f64 v[194:195], v[142:143], s[38:39], v[60:61]
	v_fma_f64 v[44:45], v[142:143], s[52:53], v[60:61]
	;; [unrolled: 1-line block ×3, first 2 shown]
	v_add_f64_e32 v[34:35], v[194:195], v[34:35]
	v_mul_f64_e32 v[194:195], s[52:53], v[176:177]
	s_delay_alu instid0(VALU_DEP_4) | instskip(NEXT) | instid1(VALU_DEP_2)
	v_add_f64_e32 v[40:41], v[44:45], v[40:41]
	v_fma_f64 v[196:197], v[144:145], s[24:25], v[194:195]
	v_fma_f64 v[44:45], v[144:145], s[24:25], -v[194:195]
	s_delay_alu instid0(VALU_DEP_2) | instskip(SKIP_1) | instid1(VALU_DEP_3)
	v_add_f64_e32 v[36:37], v[196:197], v[36:37]
	v_mul_f64_e32 v[196:197], s[16:17], v[178:179]
	v_add_f64_e32 v[42:43], v[44:45], v[42:43]
	s_delay_alu instid0(VALU_DEP_2) | instskip(SKIP_1) | instid1(VALU_DEP_2)
	v_fma_f64 v[198:199], v[146:147], s[48:49], v[196:197]
	v_fma_f64 v[44:45], v[146:147], s[18:19], v[196:197]
	v_add_f64_e32 v[34:35], v[198:199], v[34:35]
	v_mul_f64_e32 v[198:199], s[18:19], v[180:181]
	s_delay_alu instid0(VALU_DEP_3) | instskip(NEXT) | instid1(VALU_DEP_2)
	v_add_f64_e32 v[40:41], v[44:45], v[40:41]
	v_fma_f64 v[200:201], v[148:149], s[16:17], v[198:199]
	v_fma_f64 v[44:45], v[148:149], s[16:17], -v[198:199]
	s_delay_alu instid0(VALU_DEP_2) | instskip(SKIP_1) | instid1(VALU_DEP_3)
	v_add_f64_e32 v[36:37], v[200:201], v[36:37]
	v_mul_f64_e32 v[200:201], s[8:9], v[182:183]
	v_add_f64_e32 v[42:43], v[44:45], v[42:43]
	s_delay_alu instid0(VALU_DEP_2) | instskip(SKIP_1) | instid1(VALU_DEP_2)
	v_fma_f64 v[202:203], v[150:151], s[26:27], v[200:201]
	v_fma_f64 v[44:45], v[150:151], s[44:45], v[200:201]
	v_add_f64_e32 v[34:35], v[202:203], v[34:35]
	v_mul_f64_e32 v[202:203], s[44:45], v[184:185]
	s_delay_alu instid0(VALU_DEP_3) | instskip(NEXT) | instid1(VALU_DEP_2)
	;; [unrolled: 13-line block ×3, first 2 shown]
	v_add_f64_e32 v[40:41], v[44:45], v[40:41]
	v_fma_f64 v[44:45], v[156:157], s[4:5], -v[206:207]
	v_fma_f64 v[208:209], v[156:157], s[4:5], v[206:207]
	s_delay_alu instid0(VALU_DEP_2) | instskip(SKIP_1) | instid1(VALU_DEP_3)
	v_add_f64_e32 v[42:43], v[44:45], v[42:43]
	v_fma_f64 v[44:45], v[160:161], s[50:51], v[210:211]
	v_add_f64_e32 v[208:209], v[208:209], v[36:37]
	v_fma_f64 v[36:37], v[160:161], s[22:23], v[210:211]
	s_delay_alu instid0(VALU_DEP_4) | instskip(SKIP_2) | instid1(VALU_DEP_4)
	v_add_f64_e32 v[42:43], v[50:51], v[42:43]
	v_mul_f64_e32 v[50:51], s[4:5], v[164:165]
	v_add_f64_e32 v[44:45], v[44:45], v[40:41]
	v_add_f64_e32 v[36:37], v[36:37], v[34:35]
	v_fma_f64 v[34:35], v[162:163], s[20:21], v[212:213]
	s_delay_alu instid0(VALU_DEP_4) | instskip(SKIP_1) | instid1(VALU_DEP_3)
	v_fma_f64 v[40:41], v[134:135], s[28:29], v[50:51]
	v_fma_f64 v[50:51], v[134:135], s[40:41], v[50:51]
	v_add_f64_e32 v[34:35], v[34:35], v[208:209]
	s_delay_alu instid0(VALU_DEP_3) | instskip(SKIP_1) | instid1(VALU_DEP_4)
	v_add_f64_e32 v[38:39], v[40:41], v[38:39]
	v_fma_f64 v[40:41], v[158:159], s[16:17], v[52:53]
	v_add_f64_e32 v[48:49], v[50:51], v[48:49]
	v_fma_f64 v[50:51], v[158:159], s[16:17], -v[52:53]
	v_fma_f64 v[52:53], v[136:137], s[4:5], -v[58:59]
	;; [unrolled: 1-line block ×3, first 2 shown]
	v_add_f64_e32 v[40:41], v[0:1], v[40:41]
	s_delay_alu instid0(VALU_DEP_4) | instskip(NEXT) | instid1(VALU_DEP_2)
	v_add_f64_e32 v[50:51], v[0:1], v[50:51]
	v_add_f64_e32 v[40:41], v[60:61], v[40:41]
	v_mul_f64_e32 v[60:61], s[10:11], v[168:169]
	s_delay_alu instid0(VALU_DEP_3) | instskip(NEXT) | instid1(VALU_DEP_2)
	v_add_f64_e32 v[50:51], v[52:53], v[50:51]
	v_fma_f64 v[194:195], v[138:139], s[46:47], v[60:61]
	v_fma_f64 v[52:53], v[138:139], s[36:37], v[60:61]
	v_mul_f64_e32 v[60:61], s[22:23], v[166:167]
	v_mul_f64_e32 v[166:167], s[38:39], v[166:167]
	s_delay_alu instid0(VALU_DEP_4) | instskip(SKIP_2) | instid1(VALU_DEP_2)
	v_add_f64_e32 v[38:39], v[194:195], v[38:39]
	v_mul_f64_e32 v[194:195], s[36:37], v[172:173]
	v_add_f64_e32 v[48:49], v[52:53], v[48:49]
	v_fma_f64 v[196:197], v[140:141], s[10:11], v[194:195]
	v_fma_f64 v[52:53], v[140:141], s[10:11], -v[194:195]
	v_mul_f64_e32 v[194:195], s[14:15], v[170:171]
	v_mul_f64_e32 v[170:171], s[22:23], v[170:171]
	s_delay_alu instid0(VALU_DEP_4) | instskip(SKIP_2) | instid1(VALU_DEP_2)
	v_add_f64_e32 v[40:41], v[196:197], v[40:41]
	v_mul_f64_e32 v[196:197], s[0:1], v[174:175]
	v_add_f64_e32 v[50:51], v[52:53], v[50:51]
	v_fma_f64 v[198:199], v[142:143], s[34:35], v[196:197]
	v_fma_f64 v[52:53], v[142:143], s[30:31], v[196:197]
	v_fma_f64 v[196:197], v[136:137], s[12:13], v[194:195]
	s_delay_alu instid0(VALU_DEP_3) | instskip(SKIP_1) | instid1(VALU_DEP_4)
	v_add_f64_e32 v[38:39], v[198:199], v[38:39]
	v_mul_f64_e32 v[198:199], s[30:31], v[176:177]
	v_add_f64_e32 v[48:49], v[52:53], v[48:49]
	s_delay_alu instid0(VALU_DEP_2) | instskip(SKIP_1) | instid1(VALU_DEP_2)
	v_fma_f64 v[200:201], v[144:145], s[0:1], v[198:199]
	v_fma_f64 v[52:53], v[144:145], s[0:1], -v[198:199]
	v_add_f64_e32 v[40:41], v[200:201], v[40:41]
	v_mul_f64_e32 v[200:201], s[20:21], v[178:179]
	s_delay_alu instid0(VALU_DEP_3) | instskip(NEXT) | instid1(VALU_DEP_2)
	v_add_f64_e32 v[50:51], v[52:53], v[50:51]
	v_fma_f64 v[202:203], v[146:147], s[22:23], v[200:201]
	v_fma_f64 v[52:53], v[146:147], s[50:51], v[200:201]
	s_delay_alu instid0(VALU_DEP_2) | instskip(SKIP_1) | instid1(VALU_DEP_3)
	v_add_f64_e32 v[38:39], v[202:203], v[38:39]
	v_mul_f64_e32 v[202:203], s[50:51], v[180:181]
	v_add_f64_e32 v[48:49], v[52:53], v[48:49]
	s_delay_alu instid0(VALU_DEP_2) | instskip(SKIP_1) | instid1(VALU_DEP_2)
	v_fma_f64 v[204:205], v[148:149], s[20:21], v[202:203]
	v_fma_f64 v[52:53], v[148:149], s[20:21], -v[202:203]
	v_add_f64_e32 v[40:41], v[204:205], v[40:41]
	v_mul_f64_e32 v[204:205], s[24:25], v[182:183]
	s_delay_alu instid0(VALU_DEP_3) | instskip(NEXT) | instid1(VALU_DEP_2)
	v_add_f64_e32 v[50:51], v[52:53], v[50:51]
	v_fma_f64 v[206:207], v[150:151], s[52:53], v[204:205]
	v_fma_f64 v[52:53], v[150:151], s[38:39], v[204:205]
	s_delay_alu instid0(VALU_DEP_2) | instskip(SKIP_1) | instid1(VALU_DEP_3)
	;; [unrolled: 13-line block ×3, first 2 shown]
	v_add_f64_e32 v[38:39], v[210:211], v[38:39]
	v_mul_f64_e32 v[210:211], s[14:15], v[188:189]
	v_add_f64_e32 v[48:49], v[52:53], v[48:49]
	s_delay_alu instid0(VALU_DEP_2) | instskip(SKIP_1) | instid1(VALU_DEP_2)
	v_fma_f64 v[52:53], v[156:157], s[12:13], -v[210:211]
	v_fma_f64 v[212:213], v[156:157], s[12:13], v[210:211]
	v_add_f64_e32 v[50:51], v[52:53], v[50:51]
	v_fma_f64 v[52:53], v[160:161], s[44:45], v[214:215]
	s_delay_alu instid0(VALU_DEP_3) | instskip(SKIP_1) | instid1(VALU_DEP_4)
	v_add_f64_e32 v[212:213], v[212:213], v[40:41]
	v_fma_f64 v[40:41], v[160:161], s[26:27], v[214:215]
	v_add_f64_e32 v[50:51], v[58:59], v[50:51]
	v_mul_f64_e32 v[58:59], s[12:13], v[164:165]
	v_add_f64_e32 v[52:53], v[52:53], v[48:49]
	s_delay_alu instid0(VALU_DEP_4) | instskip(SKIP_4) | instid1(VALU_DEP_4)
	v_add_f64_e32 v[40:41], v[40:41], v[38:39]
	v_fma_f64 v[38:39], v[162:163], s[8:9], v[216:217]
	v_mul_f64_e32 v[164:165], s[20:21], v[164:165]
	v_fma_f64 v[48:49], v[134:135], s[42:43], v[58:59]
	v_fma_f64 v[58:59], v[134:135], s[14:15], v[58:59]
	v_add_f64_e32 v[38:39], v[38:39], v[212:213]
	s_delay_alu instid0(VALU_DEP_3) | instskip(SKIP_1) | instid1(VALU_DEP_4)
	v_add_f64_e32 v[46:47], v[48:49], v[46:47]
	v_fma_f64 v[48:49], v[158:159], s[20:21], v[60:61]
	v_add_f64_e32 v[56:57], v[58:59], v[56:57]
	v_fma_f64 v[58:59], v[158:159], s[20:21], -v[60:61]
	v_fma_f64 v[60:61], v[136:137], s[12:13], -v[194:195]
	;; [unrolled: 1-line block ×3, first 2 shown]
	v_add_f64_e32 v[48:49], v[0:1], v[48:49]
	s_delay_alu instid0(VALU_DEP_4) | instskip(NEXT) | instid1(VALU_DEP_2)
	v_add_f64_e32 v[58:59], v[0:1], v[58:59]
	v_add_f64_e32 v[48:49], v[196:197], v[48:49]
	v_mul_f64_e32 v[196:197], s[4:5], v[168:169]
	s_delay_alu instid0(VALU_DEP_3) | instskip(SKIP_1) | instid1(VALU_DEP_3)
	v_add_f64_e32 v[58:59], v[60:61], v[58:59]
	v_mul_f64_e32 v[168:169], s[16:17], v[168:169]
	v_fma_f64 v[198:199], v[138:139], s[28:29], v[196:197]
	v_fma_f64 v[60:61], v[138:139], s[40:41], v[196:197]
	s_delay_alu instid0(VALU_DEP_2) | instskip(SKIP_1) | instid1(VALU_DEP_3)
	v_add_f64_e32 v[46:47], v[198:199], v[46:47]
	v_mul_f64_e32 v[198:199], s[40:41], v[172:173]
	v_add_f64_e32 v[56:57], v[60:61], v[56:57]
	v_mul_f64_e32 v[172:173], s[18:19], v[172:173]
	s_delay_alu instid0(VALU_DEP_3) | instskip(SKIP_1) | instid1(VALU_DEP_2)
	v_fma_f64 v[200:201], v[140:141], s[4:5], v[198:199]
	v_fma_f64 v[60:61], v[140:141], s[4:5], -v[198:199]
	v_add_f64_e32 v[48:49], v[200:201], v[48:49]
	v_mul_f64_e32 v[200:201], s[10:11], v[174:175]
	s_delay_alu instid0(VALU_DEP_3) | instskip(SKIP_1) | instid1(VALU_DEP_3)
	v_add_f64_e32 v[58:59], v[60:61], v[58:59]
	v_mul_f64_e32 v[174:175], s[12:13], v[174:175]
	v_fma_f64 v[202:203], v[142:143], s[36:37], v[200:201]
	v_fma_f64 v[60:61], v[142:143], s[46:47], v[200:201]
	s_delay_alu instid0(VALU_DEP_2) | instskip(SKIP_1) | instid1(VALU_DEP_3)
	v_add_f64_e32 v[46:47], v[202:203], v[46:47]
	v_mul_f64_e32 v[202:203], s[46:47], v[176:177]
	v_add_f64_e32 v[56:57], v[60:61], v[56:57]
	v_mul_f64_e32 v[176:177], s[14:15], v[176:177]
	s_delay_alu instid0(VALU_DEP_3) | instskip(SKIP_1) | instid1(VALU_DEP_2)
	v_fma_f64 v[204:205], v[144:145], s[10:11], v[202:203]
	v_fma_f64 v[60:61], v[144:145], s[10:11], -v[202:203]
	;; [unrolled: 15-line block ×4, first 2 shown]
	v_add_f64_e32 v[48:49], v[212:213], v[48:49]
	v_mul_f64_e32 v[212:213], s[16:17], v[186:187]
	s_delay_alu instid0(VALU_DEP_3) | instskip(SKIP_1) | instid1(VALU_DEP_3)
	v_add_f64_e32 v[58:59], v[60:61], v[58:59]
	v_mul_f64_e32 v[186:187], s[8:9], v[186:187]
	v_fma_f64 v[214:215], v[154:155], s[18:19], v[212:213]
	v_fma_f64 v[60:61], v[154:155], s[48:49], v[212:213]
	s_delay_alu instid0(VALU_DEP_2) | instskip(SKIP_1) | instid1(VALU_DEP_3)
	v_add_f64_e32 v[46:47], v[214:215], v[46:47]
	v_mul_f64_e32 v[214:215], s[48:49], v[188:189]
	v_add_f64_e32 v[56:57], v[60:61], v[56:57]
	v_mul_f64_e32 v[188:189], s[44:45], v[188:189]
	s_delay_alu instid0(VALU_DEP_3) | instskip(SKIP_1) | instid1(VALU_DEP_2)
	v_fma_f64 v[60:61], v[156:157], s[16:17], -v[214:215]
	v_fma_f64 v[216:217], v[156:157], s[16:17], v[214:215]
	v_add_f64_e32 v[58:59], v[60:61], v[58:59]
	v_fma_f64 v[60:61], v[160:161], s[52:53], v[218:219]
	s_delay_alu instid0(VALU_DEP_3) | instskip(SKIP_1) | instid1(VALU_DEP_4)
	v_add_f64_e32 v[216:217], v[216:217], v[48:49]
	v_fma_f64 v[48:49], v[160:161], s[38:39], v[218:219]
	v_add_f64_e32 v[58:59], v[194:195], v[58:59]
	s_delay_alu instid0(VALU_DEP_4) | instskip(SKIP_4) | instid1(VALU_DEP_4)
	v_add_f64_e32 v[60:61], v[60:61], v[56:57]
	v_fma_f64 v[56:57], v[134:135], s[50:51], v[164:165]
	v_fma_f64 v[194:195], v[136:137], s[20:21], v[170:171]
	v_add_f64_e32 v[48:49], v[48:49], v[46:47]
	v_fma_f64 v[46:47], v[162:163], s[24:25], v[220:221]
	v_add_f64_e32 v[54:55], v[56:57], v[54:55]
	v_fma_f64 v[56:57], v[158:159], s[24:25], v[166:167]
	v_fma_f64 v[158:159], v[158:159], s[24:25], -v[166:167]
	s_delay_alu instid0(VALU_DEP_4) | instskip(NEXT) | instid1(VALU_DEP_3)
	v_add_f64_e32 v[46:47], v[46:47], v[216:217]
	v_add_f64_e32 v[56:57], v[0:1], v[56:57]
	s_delay_alu instid0(VALU_DEP_3)
	v_add_f64_e32 v[158:159], v[0:1], v[158:159]
	v_add_f64_e32 v[0:1], v[0:1], v[62:63]
	v_fma_f64 v[62:63], v[134:135], s[22:23], v[164:165]
	v_fma_f64 v[134:135], v[136:137], s[20:21], -v[170:171]
	v_fma_f64 v[136:137], v[138:139], s[18:19], v[168:169]
	v_add_f64_e32 v[56:57], v[194:195], v[56:57]
	v_fma_f64 v[194:195], v[138:139], s[48:49], v[168:169]
	v_add_f64_e32 v[0:1], v[126:127], v[0:1]
	v_add_f64_e32 v[126:127], v[128:129], v[130:131]
	;; [unrolled: 1-line block ×3, first 2 shown]
	v_fma_f64 v[64:65], v[140:141], s[16:17], -v[172:173]
	v_add_f64_e32 v[134:135], v[134:135], v[158:159]
	v_fma_f64 v[138:139], v[142:143], s[14:15], v[174:175]
	v_add_f64_e32 v[54:55], v[194:195], v[54:55]
	v_add_f64_e32 v[0:1], v[124:125], v[0:1]
	v_add_f64_e32 v[120:121], v[120:121], v[126:127]
	v_fma_f64 v[194:195], v[140:141], s[16:17], v[172:173]
	v_add_f64_e32 v[62:63], v[136:137], v[62:63]
	v_fma_f64 v[136:137], v[144:145], s[12:13], -v[176:177]
	v_add_f64_e32 v[64:65], v[64:65], v[134:135]
	v_fma_f64 v[134:135], v[146:147], s[34:35], v[178:179]
	v_add_f64_e32 v[0:1], v[122:123], v[0:1]
	v_add_f64_e32 v[106:107], v[106:107], v[120:121]
	v_add_f64_e32 v[56:57], v[194:195], v[56:57]
	v_fma_f64 v[194:195], v[142:143], s[42:43], v[174:175]
	v_add_f64_e32 v[62:63], v[138:139], v[62:63]
	;; [unrolled: 8-line block ×5, first 2 shown]
	v_fma_f64 v[138:139], v[162:163], s[10:11], -v[192:193]
	v_add_f64_e32 v[136:137], v[136:137], v[64:65]
	v_add_f64_e32 v[0:1], v[74:75], v[0:1]
	;; [unrolled: 1-line block ×4, first 2 shown]
	v_fma_f64 v[194:195], v[150:151], s[28:29], v[182:183]
	v_add_f64_e32 v[64:65], v[134:135], v[62:63]
	v_add_f64_e32 v[62:63], v[138:139], v[136:137]
	;; [unrolled: 1-line block ×5, first 2 shown]
	v_fma_f64 v[194:195], v[152:153], s[4:5], v[184:185]
	s_delay_alu instid0(VALU_DEP_4) | instskip(NEXT) | instid1(VALU_DEP_4)
	v_add_f64_e32 v[0:1], v[68:69], v[0:1]
	v_add_f64_e32 v[68:69], v[78:79], v[74:75]
	s_delay_alu instid0(VALU_DEP_3) | instskip(SKIP_1) | instid1(VALU_DEP_4)
	v_add_f64_e32 v[56:57], v[194:195], v[56:57]
	v_fma_f64 v[194:195], v[154:155], s[26:27], v[186:187]
	v_add_f64_e32 v[0:1], v[70:71], v[0:1]
	s_delay_alu instid0(VALU_DEP_4)
	v_add_f64_e32 v[68:69], v[72:73], v[68:69]
	v_mul_lo_u32 v70, s3, v98
	v_mul_lo_u32 v71, s2, v99
	v_add_f64_e32 v[54:55], v[194:195], v[54:55]
	v_fma_f64 v[194:195], v[156:157], s[8:9], v[188:189]
	v_add_f64_e32 v[0:1], v[66:67], v[0:1]
	v_add_f64_e32 v[66:67], v[110:111], v[68:69]
	s_delay_alu instid0(VALU_DEP_3) | instskip(SKIP_1) | instid1(VALU_DEP_4)
	v_add_f64_e32 v[194:195], v[194:195], v[56:57]
	v_fma_f64 v[56:57], v[160:161], s[36:37], v[190:191]
	v_add_f64_e32 v[0:1], v[102:103], v[0:1]
	s_delay_alu instid0(VALU_DEP_4) | instskip(NEXT) | instid1(VALU_DEP_3)
	v_add_f64_e32 v[66:67], v[104:105], v[66:67]
	v_add_f64_e32 v[56:57], v[56:57], v[54:55]
	v_fma_f64 v[54:55], v[162:163], s[10:11], v[192:193]
	s_delay_alu instid0(VALU_DEP_4) | instskip(NEXT) | instid1(VALU_DEP_4)
	v_add_f64_e32 v[0:1], v[90:91], v[0:1]
	v_add_f64_e32 v[66:67], v[118:119], v[66:67]
	s_delay_alu instid0(VALU_DEP_3) | instskip(NEXT) | instid1(VALU_DEP_3)
	v_add_f64_e32 v[54:55], v[54:55], v[194:195]
	v_add_f64_e32 v[0:1], v[112:113], v[0:1]
	s_delay_alu instid0(VALU_DEP_3) | instskip(NEXT) | instid1(VALU_DEP_2)
	v_add_f64_e32 v[68:69], v[114:115], v[66:67]
	v_add_f64_e32 v[66:67], v[116:117], v[0:1]
	v_mad_co_u64_u32 v[0:1], null, s2, v98, 0
	s_delay_alu instid0(VALU_DEP_1) | instskip(NEXT) | instid1(VALU_DEP_1)
	v_add3_u32 v1, v1, v71, v70
	v_lshlrev_b64_e32 v[0:1], 4, v[0:1]
	s_delay_alu instid0(VALU_DEP_1) | instskip(SKIP_1) | instid1(VALU_DEP_2)
	v_add_co_u32 v70, vcc_lo, s6, v0
	s_wait_alu 0xfffd
	v_add_co_ci_u32_e32 v71, vcc_lo, s7, v1, vcc_lo
	v_lshlrev_b64_e32 v[0:1], 4, v[96:97]
	s_delay_alu instid0(VALU_DEP_1) | instskip(SKIP_1) | instid1(VALU_DEP_2)
	v_add_co_u32 v70, vcc_lo, v70, v0
	s_wait_alu 0xfffd
	v_add_co_ci_u32_e32 v71, vcc_lo, v71, v1, vcc_lo
	;; [unrolled: 5-line block ×3, first 2 shown]
	s_clause 0x10
	global_store_b128 v[0:1], v[58:61], off offset:2720
	global_store_b128 v[0:1], v[50:53], off offset:4080
	;; [unrolled: 1-line block ×15, first 2 shown]
	global_store_b128 v[0:1], v[66:69], off
	global_store_b128 v[0:1], v[54:57], off offset:21760
.LBB0_23:
	s_nop 0
	s_sendmsg sendmsg(MSG_DEALLOC_VGPRS)
	s_endpgm
	.section	.rodata,"a",@progbits
	.p2align	6, 0x0
	.amdhsa_kernel fft_rtc_fwd_len1445_factors_17_5_17_wgs_85_tpt_85_halfLds_dp_op_CI_CI_unitstride_sbrr_dirReg
		.amdhsa_group_segment_fixed_size 0
		.amdhsa_private_segment_fixed_size 0
		.amdhsa_kernarg_size 104
		.amdhsa_user_sgpr_count 2
		.amdhsa_user_sgpr_dispatch_ptr 0
		.amdhsa_user_sgpr_queue_ptr 0
		.amdhsa_user_sgpr_kernarg_segment_ptr 1
		.amdhsa_user_sgpr_dispatch_id 0
		.amdhsa_user_sgpr_private_segment_size 0
		.amdhsa_wavefront_size32 1
		.amdhsa_uses_dynamic_stack 0
		.amdhsa_enable_private_segment 0
		.amdhsa_system_sgpr_workgroup_id_x 1
		.amdhsa_system_sgpr_workgroup_id_y 0
		.amdhsa_system_sgpr_workgroup_id_z 0
		.amdhsa_system_sgpr_workgroup_info 0
		.amdhsa_system_vgpr_workitem_id 0
		.amdhsa_next_free_vgpr 231
		.amdhsa_next_free_sgpr 58
		.amdhsa_reserve_vcc 1
		.amdhsa_float_round_mode_32 0
		.amdhsa_float_round_mode_16_64 0
		.amdhsa_float_denorm_mode_32 3
		.amdhsa_float_denorm_mode_16_64 3
		.amdhsa_fp16_overflow 0
		.amdhsa_workgroup_processor_mode 1
		.amdhsa_memory_ordered 1
		.amdhsa_forward_progress 0
		.amdhsa_round_robin_scheduling 0
		.amdhsa_exception_fp_ieee_invalid_op 0
		.amdhsa_exception_fp_denorm_src 0
		.amdhsa_exception_fp_ieee_div_zero 0
		.amdhsa_exception_fp_ieee_overflow 0
		.amdhsa_exception_fp_ieee_underflow 0
		.amdhsa_exception_fp_ieee_inexact 0
		.amdhsa_exception_int_div_zero 0
	.end_amdhsa_kernel
	.text
.Lfunc_end0:
	.size	fft_rtc_fwd_len1445_factors_17_5_17_wgs_85_tpt_85_halfLds_dp_op_CI_CI_unitstride_sbrr_dirReg, .Lfunc_end0-fft_rtc_fwd_len1445_factors_17_5_17_wgs_85_tpt_85_halfLds_dp_op_CI_CI_unitstride_sbrr_dirReg
                                        ; -- End function
	.section	.AMDGPU.csdata,"",@progbits
; Kernel info:
; codeLenInByte = 15916
; NumSgprs: 60
; NumVgprs: 231
; ScratchSize: 0
; MemoryBound: 1
; FloatMode: 240
; IeeeMode: 1
; LDSByteSize: 0 bytes/workgroup (compile time only)
; SGPRBlocks: 7
; VGPRBlocks: 28
; NumSGPRsForWavesPerEU: 60
; NumVGPRsForWavesPerEU: 231
; Occupancy: 6
; WaveLimiterHint : 1
; COMPUTE_PGM_RSRC2:SCRATCH_EN: 0
; COMPUTE_PGM_RSRC2:USER_SGPR: 2
; COMPUTE_PGM_RSRC2:TRAP_HANDLER: 0
; COMPUTE_PGM_RSRC2:TGID_X_EN: 1
; COMPUTE_PGM_RSRC2:TGID_Y_EN: 0
; COMPUTE_PGM_RSRC2:TGID_Z_EN: 0
; COMPUTE_PGM_RSRC2:TIDIG_COMP_CNT: 0
	.text
	.p2alignl 7, 3214868480
	.fill 96, 4, 3214868480
	.type	__hip_cuid_433883f361abc3a4,@object ; @__hip_cuid_433883f361abc3a4
	.section	.bss,"aw",@nobits
	.globl	__hip_cuid_433883f361abc3a4
__hip_cuid_433883f361abc3a4:
	.byte	0                               ; 0x0
	.size	__hip_cuid_433883f361abc3a4, 1

	.ident	"AMD clang version 19.0.0git (https://github.com/RadeonOpenCompute/llvm-project roc-6.4.0 25133 c7fe45cf4b819c5991fe208aaa96edf142730f1d)"
	.section	".note.GNU-stack","",@progbits
	.addrsig
	.addrsig_sym __hip_cuid_433883f361abc3a4
	.amdgpu_metadata
---
amdhsa.kernels:
  - .args:
      - .actual_access:  read_only
        .address_space:  global
        .offset:         0
        .size:           8
        .value_kind:     global_buffer
      - .offset:         8
        .size:           8
        .value_kind:     by_value
      - .actual_access:  read_only
        .address_space:  global
        .offset:         16
        .size:           8
        .value_kind:     global_buffer
      - .actual_access:  read_only
        .address_space:  global
        .offset:         24
        .size:           8
        .value_kind:     global_buffer
      - .actual_access:  read_only
        .address_space:  global
        .offset:         32
        .size:           8
        .value_kind:     global_buffer
      - .offset:         40
        .size:           8
        .value_kind:     by_value
      - .actual_access:  read_only
        .address_space:  global
        .offset:         48
        .size:           8
        .value_kind:     global_buffer
      - .actual_access:  read_only
        .address_space:  global
        .offset:         56
        .size:           8
        .value_kind:     global_buffer
      - .offset:         64
        .size:           4
        .value_kind:     by_value
      - .actual_access:  read_only
        .address_space:  global
        .offset:         72
        .size:           8
        .value_kind:     global_buffer
      - .actual_access:  read_only
        .address_space:  global
        .offset:         80
        .size:           8
        .value_kind:     global_buffer
      - .actual_access:  read_only
        .address_space:  global
        .offset:         88
        .size:           8
        .value_kind:     global_buffer
      - .actual_access:  write_only
        .address_space:  global
        .offset:         96
        .size:           8
        .value_kind:     global_buffer
    .group_segment_fixed_size: 0
    .kernarg_segment_align: 8
    .kernarg_segment_size: 104
    .language:       OpenCL C
    .language_version:
      - 2
      - 0
    .max_flat_workgroup_size: 85
    .name:           fft_rtc_fwd_len1445_factors_17_5_17_wgs_85_tpt_85_halfLds_dp_op_CI_CI_unitstride_sbrr_dirReg
    .private_segment_fixed_size: 0
    .sgpr_count:     60
    .sgpr_spill_count: 0
    .symbol:         fft_rtc_fwd_len1445_factors_17_5_17_wgs_85_tpt_85_halfLds_dp_op_CI_CI_unitstride_sbrr_dirReg.kd
    .uniform_work_group_size: 1
    .uses_dynamic_stack: false
    .vgpr_count:     231
    .vgpr_spill_count: 0
    .wavefront_size: 32
    .workgroup_processor_mode: 1
amdhsa.target:   amdgcn-amd-amdhsa--gfx1201
amdhsa.version:
  - 1
  - 2
...

	.end_amdgpu_metadata
